;; amdgpu-corpus repo=ROCm/Tensile kind=harvested arch=n/a opt=n/a

/******************************************/
/* Function Prefix                        */
/******************************************/



/******************************************/
/* Begin Kernel                           */
/******************************************/

// Component.Signature.SignatureDefault
.amdgcn_target "amdgcn-amd-amdhsa--gfx942"
.text
.protected Cijk_Alik_Bjlk_DB_MT128x128x16_MI16x16x4x1_SN_1LDSB1_APM1_AF0EM1_AF1EM1_AMAS0_ASE_ASGT_ASLT_ASM_ASAE01_ASCE01_ASEM1_BL1_BS1_CLR0_DTVA0_DTVB0_ETSP_EPS1_ELFLR0_EMLL0_FSSC10_FL0_GLVWA2_GLVWB2_GRCGA1_GRPM1_GRVW2_GSU1_GSUASB_GLS1_IU1_K1_LBSPPA128_LBSPPB0_LPA4_LPB0_LRVW2_LWPMn1_MIAV0_MKFGSU256_NTA0_NTB0_NTC3_NTD3_NEPBS0_NLCA1_NLCB1_ONLL1_PGR2_PLR5_PKA0_SIA3_SLW1_SS1_SU0_SUM0_SUS0_SPO1_SRVW0_SSO8_SVW1_TSGRA0_TSGRB0_TT8_32_TLDS1_UMLDSA1_UMLDSB0_USFGROn1_VAW1_VSn1_VW1_VWB1_VFLRP0_WSGRA0_WSGRB0_WG16_16_1_WGM12
.globl Cijk_Alik_Bjlk_DB_MT128x128x16_MI16x16x4x1_SN_1LDSB1_APM1_AF0EM1_AF1EM1_AMAS0_ASE_ASGT_ASLT_ASM_ASAE01_ASCE01_ASEM1_BL1_BS1_CLR0_DTVA0_DTVB0_ETSP_EPS1_ELFLR0_EMLL0_FSSC10_FL0_GLVWA2_GLVWB2_GRCGA1_GRPM1_GRVW2_GSU1_GSUASB_GLS1_IU1_K1_LBSPPA128_LBSPPB0_LPA4_LPB0_LRVW2_LWPMn1_MIAV0_MKFGSU256_NTA0_NTB0_NTC3_NTD3_NEPBS0_NLCA1_NLCB1_ONLL1_PGR2_PLR5_PKA0_SIA3_SLW1_SS1_SU0_SUM0_SUS0_SPO1_SRVW0_SSO8_SVW1_TSGRA0_TSGRB0_TT8_32_TLDS1_UMLDSA1_UMLDSB0_USFGROn1_VAW1_VSn1_VW1_VWB1_VFLRP0_WSGRA0_WSGRB0_WG16_16_1_WGM12
.p2align 8
.type Cijk_Alik_Bjlk_DB_MT128x128x16_MI16x16x4x1_SN_1LDSB1_APM1_AF0EM1_AF1EM1_AMAS0_ASE_ASGT_ASLT_ASM_ASAE01_ASCE01_ASEM1_BL1_BS1_CLR0_DTVA0_DTVB0_ETSP_EPS1_ELFLR0_EMLL0_FSSC10_FL0_GLVWA2_GLVWB2_GRCGA1_GRPM1_GRVW2_GSU1_GSUASB_GLS1_IU1_K1_LBSPPA128_LBSPPB0_LPA4_LPB0_LRVW2_LWPMn1_MIAV0_MKFGSU256_NTA0_NTB0_NTC3_NTD3_NEPBS0_NLCA1_NLCB1_ONLL1_PGR2_PLR5_PKA0_SIA3_SLW1_SS1_SU0_SUM0_SUS0_SPO1_SRVW0_SSO8_SVW1_TSGRA0_TSGRB0_TT8_32_TLDS1_UMLDSA1_UMLDSB0_USFGROn1_VAW1_VSn1_VW1_VWB1_VFLRP0_WSGRA0_WSGRB0_WG16_16_1_WGM12,@function
.section .rodata,#alloc
.p2align 6
.amdhsa_kernel Cijk_Alik_Bjlk_DB_MT128x128x16_MI16x16x4x1_SN_1LDSB1_APM1_AF0EM1_AF1EM1_AMAS0_ASE_ASGT_ASLT_ASM_ASAE01_ASCE01_ASEM1_BL1_BS1_CLR0_DTVA0_DTVB0_ETSP_EPS1_ELFLR0_EMLL0_FSSC10_FL0_GLVWA2_GLVWB2_GRCGA1_GRPM1_GRVW2_GSU1_GSUASB_GLS1_IU1_K1_LBSPPA128_LBSPPB0_LPA4_LPB0_LRVW2_LWPMn1_MIAV0_MKFGSU256_NTA0_NTB0_NTC3_NTD3_NEPBS0_NLCA1_NLCB1_ONLL1_PGR2_PLR5_PKA0_SIA3_SLW1_SS1_SU0_SUM0_SUS0_SPO1_SRVW0_SSO8_SVW1_TSGRA0_TSGRB0_TT8_32_TLDS1_UMLDSA1_UMLDSB0_USFGROn1_VAW1_VSn1_VW1_VWB1_VFLRP0_WSGRA0_WSGRB0_WG16_16_1_WGM12
  .amdhsa_user_sgpr_kernarg_segment_ptr 1
  .amdhsa_user_sgpr_kernarg_preload_offset 0
  .amdhsa_user_sgpr_kernarg_preload_length 0
  .amdhsa_user_sgpr_count 2
  .amdhsa_accum_offset 256 // accvgpr offset
  .amdhsa_next_free_vgpr 384 // vgprs
  .amdhsa_next_free_sgpr 60 // sgprs
  .amdhsa_group_segment_fixed_size 36864 // lds bytes
  .amdhsa_private_segment_fixed_size 0
  .amdhsa_system_sgpr_workgroup_id_x 1
  .amdhsa_system_sgpr_workgroup_id_y 1
  .amdhsa_system_sgpr_workgroup_id_z 1
  .amdhsa_system_vgpr_workitem_id 0
  .amdhsa_float_denorm_mode_32 3
  .amdhsa_float_denorm_mode_16_64 3
.end_amdhsa_kernel
.text

/******************************************/
/* Optimizations and Config:              */
/******************************************/
/* ThreadTile= 32 x 2 */
/* SubGroup= 4 x 64 */
/* VectorWidthA=1 */
/* VectorWidthB=1 */
/* GlobalLoadVectorWidthA=2, GlobalLoadVectorWidthB=2 */
/* DirectToLdsA=False */
/* DirectToLdsB=False */
/* UseSgprForGRO=False */
.amdgpu_metadata
---
amdhsa.version:
  - 1
  - 1
amdhsa.target: amdgcn-amd-amdhsa--gfx942
amdhsa.kernels:
  - .name: Cijk_Alik_Bjlk_DB_MT128x128x16_MI16x16x4x1_SN_1LDSB1_APM1_AF0EM1_AF1EM1_AMAS0_ASE_ASGT_ASLT_ASM_ASAE01_ASCE01_ASEM1_BL1_BS1_CLR0_DTVA0_DTVB0_ETSP_EPS1_ELFLR0_EMLL0_FSSC10_FL0_GLVWA2_GLVWB2_GRCGA1_GRPM1_GRVW2_GSU1_GSUASB_GLS1_IU1_K1_LBSPPA128_LBSPPB0_LPA4_LPB0_LRVW2_LWPMn1_MIAV0_MKFGSU256_NTA0_NTB0_NTC3_NTD3_NEPBS0_NLCA1_NLCB1_ONLL1_PGR2_PLR5_PKA0_SIA3_SLW1_SS1_SU0_SUM0_SUS0_SPO1_SRVW0_SSO8_SVW1_TSGRA0_TSGRB0_TT8_32_TLDS1_UMLDSA1_UMLDSB0_USFGROn1_VAW1_VSn1_VW1_VWB1_VFLRP0_WSGRA0_WSGRB0_WG16_16_1_WGM12
    .symbol: 'Cijk_Alik_Bjlk_DB_MT128x128x16_MI16x16x4x1_SN_1LDSB1_APM1_AF0EM1_AF1EM1_AMAS0_ASE_ASGT_ASLT_ASM_ASAE01_ASCE01_ASEM1_BL1_BS1_CLR0_DTVA0_DTVB0_ETSP_EPS1_ELFLR0_EMLL0_FSSC10_FL0_GLVWA2_GLVWB2_GRCGA1_GRPM1_GRVW2_GSU1_GSUASB_GLS1_IU1_K1_LBSPPA128_LBSPPB0_LPA4_LPB0_LRVW2_LWPMn1_MIAV0_MKFGSU256_NTA0_NTB0_NTC3_NTD3_NEPBS0_NLCA1_NLCB1_ONLL1_PGR2_PLR5_PKA0_SIA3_SLW1_SS1_SU0_SUM0_SUS0_SPO1_SRVW0_SSO8_SVW1_TSGRA0_TSGRB0_TT8_32_TLDS1_UMLDSA1_UMLDSB0_USFGROn1_VAW1_VSn1_VW1_VWB1_VFLRP0_WSGRA0_WSGRB0_WG16_16_1_WGM12.kd'
    .language:                   OpenCL C
    .language_version:
      - 2
      - 0
    .args:
      - .name:            Tensor2dSizeA
        .size:            8
        .offset:          0
        .value_kind:      by_value
        .value_type:      u64
      - .name:            Tensor2dSizeB
        .size:            8
        .offset:          8
        .value_kind:      by_value
        .value_type:      u64
      - .name:            AddressD
        .size:            8
        .offset:          16
        .value_kind:      by_value
        .value_type:      u64
      - .name:            AddressC
        .size:            8
        .offset:          24
        .value_kind:      by_value
        .value_type:      u64
      - .name:            AddressA
        .size:            8
        .offset:          32
        .value_kind:      by_value
        .value_type:      u64
      - .name:            AddressB
        .size:            8
        .offset:          40
        .value_kind:      by_value
        .value_type:      u64
      - .name:            Alpha
        .size:            8
        .offset:          48
        .value_kind:      by_value
        .value_type:      u64
      - .name:            Beta
        .size:            8
        .offset:          56
        .value_kind:      by_value
        .value_type:      u64
      - .name:            StridesD
        .size:            8
        .offset:          64
        .value_kind:      by_value
        .value_type:      u64
      - .name:            StridesC
        .size:            8
        .offset:          72
        .value_kind:      by_value
        .value_type:      u64
      - .name:            StridesA
        .size:            8
        .offset:          80
        .value_kind:      by_value
        .value_type:      u64
      - .name:            StridesB
        .size:            8
        .offset:          88
        .value_kind:      by_value
        .value_type:      u64
      - .name:            SizesFree
        .size:            12
        .offset:          96
        .value_kind:      by_value
        .value_type:      u96
      - .name:            SizesSum
        .size:            4
        .offset:          108
        .value_kind:      by_value
        .value_type:      u32
      - .name:            NumWorkGroups0
        .size:            4
        .offset:          112
        .value_kind:      by_value
        .value_type:      u32
      - .name:            NumWorkGroups1
        .size:            4
        .offset:          116
        .value_kind:      by_value
        .value_type:      u32
      - .name:            NumFullBlocks
        .size:            4
        .offset:          120
        .value_kind:      by_value
        .value_type:      u32
      - .name:            WgmRemainder1
        .size:            4
        .offset:          124
        .value_kind:      by_value
        .value_type:      u32
      - .name:            MagicNumberWgmRemainder1
        .size:            4
        .offset:          128
        .value_kind:      by_value
        .value_type:      u32
    .group_segment_fixed_size:   36864
    .kernarg_segment_align:      8
    .kernarg_segment_size:       136
    .max_flat_workgroup_size:    256
    .private_segment_fixed_size: 0
    .sgpr_count:                 60
    .sgpr_spill_count:           0
    .vgpr_count:                 256
    .vgpr_spill_count:           0
    .wavefront_size:             64
...
.end_amdgpu_metadata
Cijk_Alik_Bjlk_DB_MT128x128x16_MI16x16x4x1_SN_1LDSB1_APM1_AF0EM1_AF1EM1_AMAS0_ASE_ASGT_ASLT_ASM_ASAE01_ASCE01_ASEM1_BL1_BS1_CLR0_DTVA0_DTVB0_ETSP_EPS1_ELFLR0_EMLL0_FSSC10_FL0_GLVWA2_GLVWB2_GRCGA1_GRPM1_GRVW2_GSU1_GSUASB_GLS1_IU1_K1_LBSPPA128_LBSPPB0_LPA4_LPB0_LRVW2_LWPMn1_MIAV0_MKFGSU256_NTA0_NTB0_NTC3_NTD3_NEPBS0_NLCA1_NLCB1_ONLL1_PGR2_PLR5_PKA0_SIA3_SLW1_SS1_SU0_SUM0_SUS0_SPO1_SRVW0_SSO8_SVW1_TSGRA0_TSGRB0_TT8_32_TLDS1_UMLDSA1_UMLDSB0_USFGROn1_VAW1_VSn1_VW1_VWB1_VFLRP0_WSGRA0_WSGRB0_WG16_16_1_WGM12:

/******************************************/
/* Asm syntax workarounds                 */
/******************************************/
.macro _v_add_co_u32 dst:req, cc:req, src0:req, src1:req, dpp=
   v_add_co_u32 \dst, \cc, \src0, \src1 \dpp
.endm

.macro _v_add_u32 dst:req, src0:req, src1:req, dpp=
   v_add_u32 \dst, \src0, \src1 \dpp
.endm

.macro _v_add_i32 dst:req, src0:req, src1:req, dpp=
   v_add_i32 \dst, \src0, \src1 \dpp
.endm

.macro _v_addc_co_u32 dst:req, ccOut:req, src0:req, ccIn:req, src1:req, dpp=
   v_addc_co_u32 \dst, \ccOut, \src0, \ccIn, \src1 \dpp
.endm

.macro _v_sub_co_u32 dst:req, cc:req, src0:req, src1:req, dpp=
   v_sub_co_u32 \dst, \cc, \src0, \src1 \dpp
.endm

.macro _v_sub_u32 dst:req, src0:req, src1:req, dpp=
   v_sub_u32 \dst, \src0, \src1 \dpp
.endm

.macro _v_sub_i32 dst:req, src0:req, src1:req, dpp=
   v_sub_i32 \dst, \src0, \src1 \dpp
.endm

.macro _v_add_lshl_u32 dst:req, src0:req, src1:req, shiftCnt:req
    v_add_lshl_u32 \dst, \src0, \src1, \shiftCnt
.endm

.macro _v_lshl_add_u32 dst:req, src0:req, src1:req, shiftCnt:req
    v_lshl_add_u32 \dst, \src0, \src1, \shiftCnt
.endm

.macro _v_lshl_or_b32 dst:req, src0:req, shiftCnt:req, src1:req
    v_lshl_or_b32 \dst, \src0, \shiftCnt, \src1
.endm

.macro _v_dot2acc_f32_f16 dst, src0, src1
v_dot2c_f32_f16 \dst, \src0, \src1
.endm

.macro _v_cmpx_lt_i16 dst, src0, src1=
   v_cmpx_lt_i16 \dst, \src0, \src1 
.endm

.macro _v_cmpx_lt_i32 dst, src0, src1=
   v_cmpx_lt_i32 \dst, \src0, \src1 
.endm

.macro _v_cmpx_lt_i64 dst, src0, src1=
   v_cmpx_lt_i64 \dst, \src0, \src1 
.endm

.macro _v_cmpx_lt_u16 dst, src0, src1=
   v_cmpx_lt_u16 \dst, \src0, \src1 
.endm

.macro _v_cmpx_lt_u32 dst, src0, src1=
   v_cmpx_lt_u32 \dst, \src0, \src1 
.endm

.macro _v_cmpx_lt_u64 dst, src0, src1=
   v_cmpx_lt_u64 \dst, \src0, \src1 
.endm

.macro _v_cmpx_eq_i16 dst, src0, src1=
   v_cmpx_eq_i16 \dst, \src0, \src1 
.endm

.macro _v_cmpx_eq_i32 dst, src0, src1=
   v_cmpx_eq_i32 \dst, \src0, \src1 
.endm

.macro _v_cmpx_eq_i64 dst, src0, src1=
   v_cmpx_eq_i64 \dst, \src0, \src1 
.endm

.macro _v_cmpx_eq_u16 dst, src0, src1=
   v_cmpx_eq_u16 \dst, \src0, \src1 
.endm

.macro _v_cmpx_eq_u32 dst, src0, src1=
   v_cmpx_eq_u32 \dst, \src0, \src1 
.endm

.macro _v_cmpx_eq_u64 dst, src0, src1=
   v_cmpx_eq_u64 \dst, \src0, \src1 
.endm

.macro _v_cmpx_le_i16 dst, src0, src1=
   v_cmpx_le_i16 \dst, \src0, \src1 
.endm

.macro _v_cmpx_le_i32 dst, src0, src1=
   v_cmpx_le_i32 \dst, \src0, \src1 
.endm

.macro _v_cmpx_le_i64 dst, src0, src1=
   v_cmpx_le_i64 \dst, \src0, \src1 
.endm

.macro _v_cmpx_le_u16 dst, src0, src1=
   v_cmpx_le_u16 \dst, \src0, \src1 
.endm

.macro _v_cmpx_le_u32 dst, src0, src1=
   v_cmpx_le_u32 \dst, \src0, \src1 
.endm

.macro _v_cmpx_le_u64 dst, src0, src1=
   v_cmpx_le_u64 \dst, \src0, \src1 
.endm

.macro _v_cmpx_gt_i16 dst, src0, src1=
   v_cmpx_gt_i16 \dst, \src0, \src1 
.endm

.macro _v_cmpx_gt_i32 dst, src0, src1=
   v_cmpx_gt_i32 \dst, \src0, \src1 
.endm

.macro _v_cmpx_gt_i64 dst, src0, src1=
   v_cmpx_gt_i64 \dst, \src0, \src1 
.endm

.macro _v_cmpx_gt_u16 dst, src0, src1=
   v_cmpx_gt_u16 \dst, \src0, \src1 
.endm

.macro _v_cmpx_gt_u32 dst, src0, src1=
   v_cmpx_gt_u32 \dst, \src0, \src1 
.endm

.macro _v_cmpx_gt_u64 dst, src0, src1=
   v_cmpx_gt_u64 \dst, \src0, \src1 
.endm

.macro _v_cmpx_ne_i16 dst, src0, src1=
   v_cmpx_ne_i16 \dst, \src0, \src1 
.endm

.macro _v_cmpx_ne_i32 dst, src0, src1=
   v_cmpx_ne_i32 \dst, \src0, \src1 
.endm

.macro _v_cmpx_ne_i64 dst, src0, src1=
   v_cmpx_ne_i64 \dst, \src0, \src1 
.endm

.macro _v_cmpx_ne_u16 dst, src0, src1=
   v_cmpx_ne_u16 \dst, \src0, \src1 
.endm

.macro _v_cmpx_ne_u32 dst, src0, src1=
   v_cmpx_ne_u32 \dst, \src0, \src1 
.endm

.macro _v_cmpx_ne_u64 dst, src0, src1=
   v_cmpx_ne_u64 \dst, \src0, \src1 
.endm

.macro _v_cmpx_lg_i16 dst, src0, src1=
   v_cmpx_lg_i16 \dst, \src0, \src1 
.endm

.macro _v_cmpx_lg_i32 dst, src0, src1=
   v_cmpx_lg_i32 \dst, \src0, \src1 
.endm

.macro _v_cmpx_lg_i64 dst, src0, src1=
   v_cmpx_lg_i64 \dst, \src0, \src1 
.endm

.macro _v_cmpx_lg_u16 dst, src0, src1=
   v_cmpx_lg_u16 \dst, \src0, \src1 
.endm

.macro _v_cmpx_lg_u32 dst, src0, src1=
   v_cmpx_lg_u32 \dst, \src0, \src1 
.endm

.macro _v_cmpx_lg_u64 dst, src0, src1=
   v_cmpx_lg_u64 \dst, \src0, \src1 
.endm

.macro _v_cmpx_ge_i16 dst, src0, src1=
   v_cmpx_ge_i16 \dst, \src0, \src1 
.endm

.macro _v_cmpx_ge_i32 dst, src0, src1=
   v_cmpx_ge_i32 \dst, \src0, \src1 
.endm

.macro _v_cmpx_ge_i64 dst, src0, src1=
   v_cmpx_ge_i64 \dst, \src0, \src1 
.endm

.macro _v_cmpx_ge_u16 dst, src0, src1=
   v_cmpx_ge_u16 \dst, \src0, \src1 
.endm

.macro _v_cmpx_ge_u32 dst, src0, src1=
   v_cmpx_ge_u32 \dst, \src0, \src1 
.endm

.macro _v_cmpx_ge_u64 dst, src0, src1=
   v_cmpx_ge_u64 \dst, \src0, \src1 
.endm

.macro _v_cmpx_o_i16 dst, src0, src1=
   v_cmpx_o_i16 \dst, \src0, \src1 
.endm

.macro _v_cmpx_o_i32 dst, src0, src1=
   v_cmpx_o_i32 \dst, \src0, \src1 
.endm

.macro _v_cmpx_o_i64 dst, src0, src1=
   v_cmpx_o_i64 \dst, \src0, \src1 
.endm

.macro _v_cmpx_o_u16 dst, src0, src1=
   v_cmpx_o_u16 \dst, \src0, \src1 
.endm

.macro _v_cmpx_o_u32 dst, src0, src1=
   v_cmpx_o_u32 \dst, \src0, \src1 
.endm

.macro _v_cmpx_o_u64 dst, src0, src1=
   v_cmpx_o_u64 \dst, \src0, \src1 
.endm

.macro _v_cmpx_u_i16 dst, src0, src1=
   v_cmpx_u_i16 \dst, \src0, \src1 
.endm

.macro _v_cmpx_u_i32 dst, src0, src1=
   v_cmpx_u_i32 \dst, \src0, \src1 
.endm

.macro _v_cmpx_u_i64 dst, src0, src1=
   v_cmpx_u_i64 \dst, \src0, \src1 
.endm

.macro _v_cmpx_u_u16 dst, src0, src1=
   v_cmpx_u_u16 \dst, \src0, \src1 
.endm

.macro _v_cmpx_u_u32 dst, src0, src1=
   v_cmpx_u_u32 \dst, \src0, \src1 
.endm

.macro _v_cmpx_u_u64 dst, src0, src1=
   v_cmpx_u_u64 \dst, \src0, \src1 
.endm
.macro _v_mac_f32 c:req, a:req, b:req
    v_fmac_f32 \c, \a, \b
.endmacro

/* scale global load macros */
.macro _s_load_b32 dst base offset
    s_load_dword \dst \base \offset
.endm

.macro _s_load_b64 dst base offset
    s_load_dwordx2 \dst \base \offset
.endm

.macro _s_load_b128 dst base offset
    s_load_dwordx4 \dst \base \offset
.endm

.macro _s_load_b256 dst base offset
    s_load_dwordx8 \dst \base \offset
.endm

.macro _s_load_b512 dst base offset
    s_load_dwordx16 \dst \base \offset
.endm


/* ds operation macros */
.macro _ds_load_u8 dst src offset
    ds_read_u8 \dst \src \offset
.endm

.macro _ds_load_u8_d16_hi dst src offset
    ds_read_u8_d16_hi \dst \src \offset
.endm

.macro _ds_load_u16 dst src offset
    ds_read_u16 \dst \src \offset
.endm

.macro _ds_load_u16_d16_hi dst src offset
    ds_read_u16_d16_hi \dst \src \offset
.endm

.macro _ds_load_b32 dst src offset
    ds_read_b32 \dst \src \offset
.endm

.macro _ds_load_b64 dst src offset
    ds_read_b64 \dst \src \offset
.endm

.macro _ds_load_b128 dst src offset
    ds_read_b128 \dst \src \offset
.endm

.macro _ds_store_b8 dst src offset
    ds_write_b8 \dst \src \offset
.endm

.macro _ds_store_b8_d16_hi dst src offset
    ds_write_b8_d16_hi \dst \src \offset
.endm

.macro _ds_store_b16 dst src offset
    ds_write_b16 \dst \src \offset
.endm

.macro _ds_store_b16_d16_hi dst src offset
    ds_write_b16_d16_hi \dst \src \offset
.endm

.macro _ds_store_b32 dst src offset
    ds_write_b32 \dst \src \offset
.endm

.macro _ds_store_b64 dst src offset
    ds_write_b64 \dst \src \offset
.endm

.macro _ds_store_b128 dst src offset
    ds_write_b128 \dst \src \offset
.endm

.macro _ds_load2_b32 dst src offset1 offset2
    ds_read2_b32 \dst \src \offset1 \offset2
.endm

.macro _ds_load2_b64 dst src offset1 offset2
    ds_read2_b64 \dst \src \offset1 \offset2
.endm

.macro _ds_store2_b32 dst src offset1 offset2
    ds_write2_b32 \dst \src \offset1 \offset2
.endm

.macro _ds_store2_b64 dst src offset1 offset2
    ds_write2_b64 \dst \src \offset1 \offset2
.endm


/* buffer memory operation macros */
.macro _buffer_load_b32 dst voffset base soffset offen ioffset md0 md1 md2
    buffer_load_dword \dst \voffset \base \soffset \offen \ioffset \md0 \md1 \md2
.endm

.macro _buffer_load_b64 dst voffset base soffset offen ioffset md0 md1 md2
    buffer_load_dwordx2 \dst \voffset \base \soffset \offen \ioffset \md0 \md1 \md2
.endm

.macro _buffer_load_b96 dst voffset base soffset offen ioffset md0 md1 md2
    buffer_load_dwordx3 \dst \voffset \base \soffset \offen \ioffset \md0 \md1 \md2
.endm

.macro _buffer_load_b128 dst voffset base soffset offen ioffset md0 md1 md2
    buffer_load_dwordx4 \dst \voffset \base \soffset \offen \ioffset \md0 \md1 \md2
.endm

.macro _buffer_load_d16_b16 dst voffset base soffset offen ioffset md0 md1 md2
    buffer_load_short_d16 \dst \voffset \base \soffset \offen \ioffset \md0 \md1 \md2
.endm

.macro _buffer_load_d16_hi_b16 dst voffset base soffset offen ioffset md0 md1 md2
    buffer_load_short_d16_hi \dst \voffset \base \soffset \offen \ioffset \md0 \md1 \md2
.endm

.macro _buffer_load_d16_u8 dst voffset base soffset offen ioffset md0 md1 md2
    buffer_load_ubyte_d16 \dst \voffset \base \soffset \offen \ioffset \md0 \md1 \md2
.endm

.macro _buffer_load_d16_hi_u8 dst voffset base soffset offen ioffset md0 md1 md2
    buffer_load_ubyte_d16_hi \dst \voffset \base \soffset \offen \ioffset \md0 \md1 \md2
.endm

.macro _buffer_load_u16 dst voffset base soffset offen ioffset md0 md1 md2
    buffer_load_ushort \dst \voffset \base \soffset \offen \ioffset \md0 \md1 \md2
.endm

.macro _buffer_load_b32_dtl voffset base soffset offen ioffset md0 md1 md2
    buffer_load_dword \voffset \base \soffset \offen \ioffset \md0 \md1 \md2
.endm

.macro _buffer_load_b64_dtl voffset base soffset offen ioffset md0 md1 md2
    buffer_load_dwordx2 \voffset \base \soffset \offen \ioffset \md0 \md1 \md2
.endm

.macro _buffer_load_b128_dtl voffset base soffset offen ioffset md0 md1 md2
    buffer_load_dwordx4 \voffset \base \soffset \offen \ioffset \md0 \md1 \md2
.endm

.macro _buffer_load_u16_dtl voffset base soffset offen ioffset md0 md1 md2
    buffer_load_ushort \voffset \base \soffset \offen \ioffset \md0 \md1 \md2
.endm

.macro _buffer_store_b32 src voffset base soffset offen ioffset md0 md1 md2
    buffer_store_dword \src \voffset \base \soffset \offen \ioffset \md0 \md1 \md2
.endm

.macro _buffer_store_b64 src voffset base soffset offen ioffset md0 md1 md2
    buffer_store_dwordx2 \src \voffset \base \soffset \offen \ioffset \md0 \md1 \md2
.endm

.macro _buffer_store_b96 src voffset base soffset offen ioffset md0 md1 md2
    buffer_store_dwordx3 \src \voffset \base \soffset \offen \ioffset \md0 \md1 \md2
.endm

.macro _buffer_store_b128 src voffset base soffset offen ioffset md0 md1 md2
    buffer_store_dwordx4 \src \voffset \base \soffset \offen \ioffset \md0 \md1 \md2
.endm

.macro _buffer_store_b16 src voffset base soffset offen ioffset md0 md1 md2
    buffer_store_short \src \voffset \base \soffset \offen \ioffset \md0 \md1 \md2
.endm

.macro _buffer_store_d16_hi_b16 src voffset base soffset offen ioffset md0 md1 md2
    buffer_store_short_d16_hi \src \voffset \base \soffset \offen \ioffset \md0 \md1 \md2
.endm

.macro _buffer_store_b8 src voffset base soffset offen ioffset md0 md1 md2
    buffer_store_byte \src \voffset \base \soffset \offen \ioffset \md0 \md1 \md2
.endm

.macro _buffer_store_d16_hi_b8 src voffset base soffset offen ioffset md0 md1 md2
    buffer_store_byte_d16_hi \src \voffset \base \soffset \offen \ioffset \md0 \md1 \md2
.endm

.macro _buffer_atomic_cmpswap_b32 dst voffset base soffset offen ioffset md0 md1 md2
    buffer_atomic_cmpswap \dst \voffset \base \soffset \offen \ioffset \md0 \md1 \md2
.endm

.macro _buffer_atomic_cmpswap_b64 dst voffset base soffset offen ioffset md0 md1 md2
    buffer_atomic_cmpswap_x2 \dst \voffset \base \soffset \offen \ioffset \md0 \md1 \md2
.endm


/* buffer memory operation macros */
.macro _global_load_b32 dst base src ioffset md0 md1 md2
    global_load_dword \dst \base \src \ioffset \md0 \md1 \md2
.endm

.macro _global_load_b64 dst base src ioffset md0 md1 md2
    global_load_dwordx2 \dst \base \src \ioffset \md0 \md1 \md2
.endm

.macro _global_load_b96 dst base src ioffset md0 md1 md2
    global_load_dwordx3 \dst \base \src \ioffset \md0 \md1 \md2
.endm

.macro _global_load_b128 dst base src ioffset md0 md1 md2
    global_load_dwordx4 \dst \base \src \ioffset \md0 \md1 \md2
.endm

.macro _global_load_d16_b16 dst base src ioffset md0 md1 md2
    global_load_short_d16 \dst \base \src \ioffset \md0 \md1 \md2
.endm

.macro _global_load_d16_hi_b16 dst base src ioffset md0 md1 md2
    global_load_short_d16_hi \dst \base \src \ioffset \md0 \md1 \md2
.endm

.macro _global_load_d16_u8 dst base src ioffset md0 md1 md2
    global_load_ubyte_d16 \dst \base \src \ioffset \md0 \md1 \md2
.endm

.macro _global_load_d16_hi_u8 dst base src ioffset md0 md1 md2
    global_load_ubyte_d16_hi \dst \base \src \ioffset \md0 \md1 \md2
.endm

.macro _global_load_u16 dst base src ioffset md0 md1 md2
    global_load_ushort \dst \base \src \ioffset \md0 \md1 \md2
.endm

.macro _global_store_b32 base src src2 md0 md1 md2
    global_store_dword \base \src \src2 \md0 \md1 \md2
.endm

.macro _global_store_b64 base src src2 md0 md1 md2
    global_store_dwordx2 \base \src \src2 \md0 \md1 \md2
.endm

.macro _global_store_b96 base src src2 md0 md1 md2
    global_store_dwordx3 \base \src \src2 \md0 \md1 \md2
.endm

.macro _global_store_b128 base src src2 md0 md1 md2
    global_store_dwordx4 \base \src \src2 \md0 \md1 \md2
.endm

.macro _global_store_d16_b16 base src src2 md0 md1 md2
    global_store_short \base \src \src2 \md0 \md1 \md2
.endm

.macro _global_store_d16_hi_b16 base src src2 md0 md1 md2
    global_store_short_d16_hi \base \src \src2 \md0 \md1 \md2
.endm

.macro _global_store_d16_u8 base src src2 md0 md1 md2
    global_store_ubyte_d16 \base \src \src2 \md0 \md1 \md2
.endm

.macro _global_store_d16_hi_u8 base src src2 md0 md1 md2
    global_store_ubyte_d16_hi \base \src \src2 \md0 \md1 \md2
.endm

.macro _global_store_u16 base src src2 md0 md1 md2
    global_store_ushort \base \src \src2 \md0 \md1 \md2
.endm

.macro _global_atomic_cmpswap_b32 tmp base data src ioffset md
    global_atomic_cmpswap \tmp \base \data \src \ioffset \md
.endm

.macro _global_atomic_cmpswap_b64 tmp base data src ioffset md
    global_atomic_cmpswap_x2 \tmp \base \data \src \ioffset \md
.endm


/******************************************/
/* Magic div and mod functions            */
/******************************************/
.macro V_MAGIC_DIV dstIdx:req, dividend:req, magicNumber:req, magicShift:req, magicA:req
    v_mul_hi_u32 v[\dstIdx+1], \dividend, \magicNumber
    v_mul_lo_u32 v[\dstIdx+0], \dividend, \magicA
    _v_add_u32 v[\dstIdx+0], v[\dstIdx+0], v[\dstIdx+1]
    v_lshrrev_b32 v[\dstIdx+0], \magicShift, v[\dstIdx+0]
.endm

/******************************************/
/* VGPR Assignments                       */
/******************************************/
/* ValuC range: [0-0), serializedStore enabled */
.set vgprValuC, 0
/* ValuA/B   Xn=PLR buffer idx,  In=InnerUnroll idx */
.set vgprValuA_X0_I0, 0
.set vgprValuA_X1_I0, 16
.set vgprValuA_X2_I0, 32
.set vgprValuA_X3_I0, 48
.set vgprG2LA, 90
.set vgprValuB_X0_I0, 64
.set vgprValuB_X1_I0, 68
.set vgprValuB_X2_I0, 72
.set vgprValuB_X3_I0, 76
.set vgprG2LB, 106
.set vgprLocalWriteAddrA, 80
.set vgprLocalWriteAddrB, 81
.set vgprGlobalReadOffsetA, 82
.set vgprGlobalReadOffsetB, 86
.set vgprLocalReadAddrA, 122
.set vgprLocalReadAddrB, 123
.set vgprSerial, 124
/* Num VGPR=256 */
/* Num AccVGPR=128 */

/******************************************/
/* SGPR Assignments                       */
/******************************************/
.set sgprKernArgAddress, 0 // (2)
.set sgprWorkGroup0, 2 // (1)
.set sgprWorkGroup1, 3 // (1)
.set sgprWorkGroup2, 4 // (1)
.set sgprLoopCounterL, 5 // (1)
.set sgprOrigLoopCounter, 6 // (1)
.set sgprSrdA, 8 // (4)
.set sgprSrdB, 12 // (4)
.set sgprSrdD, 16 // (4)
.set sgprSrdC, 20 // (4)
.set sgprTensor2dSizeA, 24 // (2)
.set sgprTensor2dSizeB, 26 // (2)
.set sgprAddressD, 28 // (2)
.set sgprAddressC, 30 // (2)
.set sgprAddressA, 32 // (2)
.set sgprAddressB, 34 // (2)
.set sgprAlpha, 36 // (2)
.set sgprBeta, 38 // (2)
.set sgprStridesD, 40 // (2)
.set sgprStridesC, 42 // (2)
.set sgprStridesA, 44 // (2)
.set sgprStridesB, 46 // (2)
.set sgprSizesFree, 48 // (3)
.set sgprSizesSum, 51 // (1)
.set sgprNumWorkGroups0, 52 // (1)
.set sgprNumWorkGroups1, 53 // (1)
.set sgprNumFullBlocks, 54 // (1)
.set sgprWgmRemainder1, 55 // (1)
.set sgprMagicNumberWgmRemainder1, 56 // (1)
.set sgprShadowLimitA, 0 // (2)
.set sgprShadowLimitB, 28 // (2)
.set sgprGlobalReadIncsA, 7 // (1)
.set sgprGlobalReadIncsB, 30 // (1)
/* max SGPR=60 */

/* Size Assignments */
.set sgprSizeI, sgprSizesFree+0
.set sgprSizeJ, sgprSizesFree+1
.set sgprSizeK, sgprSizesFree+2
.set sgprSizeL, sgprSizesSum+0

/* Stride Assignments */
.set constStrideD0I, 1
.set sgprStrideD1J, sgprStridesD+0
.set sgprStrideDK, sgprStridesD+1
.set constStrideC0I, 1
.set sgprStrideC1J, sgprStridesC+0
.set sgprStrideCK, sgprStridesC+1
.set constStrideAL, 1
.set sgprStrideA0I, sgprStridesA+0
.set sgprStrideAK, sgprStridesA+1
.set constStrideB1J, 1
.set sgprStrideBL, sgprStridesB+0
.set sgprStrideBK, sgprStridesB+1

.set MT0, 128
.set MT1, 128
.set DepthU, 16
.set GSU, 1
.set BpeA, 8
.set BpeALog2, 3
.set BpeB, 8
.set BpeBLog2, 3
/* Number of elements to shift-left SRD */
.set SrdShiftLeftA, 2
.set SrdShiftLeftB, 2
/* 2GB limit - set offsets to -1 to exceed this and clamp */
.set BufferLimitA, 0xffffffff
.set BufferLimitB, 0xffffffff
.set BufferOOB, 0xfffff000

/******************************************/
/* Bits 127:96 of SRD.                    */
/* hex: 0x00020000                        */
/* dst_sel_x (3b): 0                      */
/* dst_sel_y (3b): 0                      */
/* dst_sel_z (3b): 0                      */
/* dst_sel_w (3b): 0                      */
/* num_format (3b): 0                     */
/* data_format (4b): 4                    */
/* user_vm_enable (1b): 0                 */
/* user_vm_mode (1b): 0                   */
/* index_stride (2b): 0                   */
/* add_tid_enable (1b): 0                 */
/* _unusedA (3b): 0                       */
/* nv (1b): 0                             */
/* _unusedB (2b): 0                       */
/* type (2b): 0                           */
/******************************************/
.set Srd127_96, 0x00020000

/* Global Offset A */
.macro GLOBAL_OFFSET_A vgprAddr:req vgprOffsetL:req vgprOffset0I:req vgprTmp:req
v_mul_lo_u32 v[\vgprTmp+0], s[sgprStrideA0I], v[\vgprOffset0I] // mul d1 lower
_v_add_co_u32 v[\vgprAddr+0], vcc, v[\vgprOffsetL], v[\vgprTmp+0] // accumulate K lower
_v_add_u32 v[\vgprAddr+0], 0x2, v[\vgprAddr+0]     // add prepad for pointer shift
v_lshlrev_b32 v[\vgprAddr+0], 0x3, v[\vgprAddr+0]  // offset *= bytes/element
.endm

/* Global Offset B */
.macro GLOBAL_OFFSET_B vgprAddr:req vgprOffset1J:req vgprOffsetL:req vgprTmp:req
v_mul_lo_u32 v[\vgprTmp+0], s[sgprStrideBL], v[\vgprOffsetL] // mul d1 lower
_v_add_co_u32 v[\vgprAddr+0], vcc, v[\vgprOffset1J], v[\vgprTmp+0] // accumulate K lower
_v_add_u32 v[\vgprAddr+0], 0x2, v[\vgprAddr+0]     // add prepad for pointer shift
v_lshlrev_b32 v[\vgprAddr+0], 0x3, v[\vgprAddr+0]  // offset *= bytes/element
.endm

/******************************************/
/* Dynamic Scalar Divide: vQuotient=vDividend/vDivisor; vRemainder=vDividend%vDivisor; */
/******************************************/
.macro DYNAMIC_VECTOR_DIVIDE vQuotient vRemainder vDividend vDivisor vTmp0 vTmp1 sTmp
v_cvt_f32_u32 v[\vQuotient], v[\vDivisor]          // 
v_rcp_f32 v[\vQuotient], v[\vQuotient]             // 
v_mul_f32 v[\vQuotient], 0x4f800000, v[\vQuotient] // 
v_cvt_u32_f32 v[\vQuotient], v[\vQuotient]         // 
v_mul_lo_u32 v[\vRemainder], v[\vDivisor], v[\vQuotient] // 
v_mul_hi_u32 v[\vTmp0], v[\vDivisor], v[\vQuotient] // 
_v_sub_co_u32 v[\vTmp1], vcc, 0x0, v[\vRemainder]  // 
v_cmp_ne_i32 s[\sTmp:\sTmp+1], 0x0, v[\vTmp0]      // 
v_cndmask_b32 v[\vRemainder], v[\vTmp1], v[\vRemainder], s[\sTmp:\sTmp+1] // 
v_mul_hi_u32 v[\vRemainder], v[\vRemainder], v[\vQuotient] // 
_v_sub_co_u32 v[\vTmp0], vcc, v[\vQuotient], v[\vRemainder] // 
_v_add_co_u32 v[\vQuotient], vcc, v[\vQuotient], v[\vRemainder] // 
v_cndmask_b32 v[\vQuotient], v[\vQuotient], v[\vTmp0], s[\sTmp:\sTmp+1] // 
v_mul_hi_u32 v[\vQuotient], v[\vQuotient], v[\vDividend] // 
v_mul_lo_u32 v[\vRemainder], v[\vQuotient], v[\vDivisor] // 
_v_sub_co_u32 v[\vTmp0], vcc, v[\vDividend], v[\vRemainder] // 
v_cmp_ge_u32 s[\sTmp:\sTmp+1], v[\vDividend], v[\vRemainder] // 
_v_add_co_u32 v[\vRemainder], vcc, 0x1, v[\vQuotient] // 
_v_add_co_u32 v[\vTmp1], vcc, -1, v[\vQuotient]    // 
v_cmp_le_u32 vcc, v[\vDivisor], v[\vTmp0]          // 
s_and_b64 vcc, s[\sTmp:\sTmp+1], vcc               // 
v_cndmask_b32 v[\vQuotient], v[\vQuotient], v[\vRemainder], vcc // 
v_cndmask_b32 v[\vQuotient], v[\vTmp1], v[\vQuotient], s[\sTmp:\sTmp+1] // 
v_cmp_ne_i32 vcc, 0x0, v[\vDivisor]                // 
v_cndmask_b32 v[\vQuotient], -1, v[\vQuotient], vcc // final result
v_mul_lo_u32 v[\vRemainder], v[\vQuotient], v[\vDivisor] // 
_v_sub_co_u32 v[\vRemainder], vcc, v[\vDividend], v[\vRemainder] // final result
.endm


	;; [unrolled: 1-line block ×3, first 2 shown]
/******************************************/
/* Allocate Resources                     */
/******************************************/

Cijk_Alik_Bjlk_DB_MT128x128x16_MI16x16x4x1_SN_1LDSB1_APM1_AF0EM1_AF1EM1_AMAS0_ASE_ASGT_ASLT_ASM_ASAE01_ASCE01_ASEM1_BL1_BS1_CLR0_DTVA0_DTVB0_ETSP_EPS1_ELFLR0_EMLL0_FSSC10_FL0_GLVWA2_GLVWB2_GRCGA1_GRPM1_GRVW2_GSU1_GSUASB_GLS1_IU1_K1_LBSPPA128_LBSPPB0_LPA4_LPB0_LRVW2_LWPMn1_MIAV0_MKFGSU256_NTA0_NTB0_NTC3_NTD3_NEPBS0_NLCA1_NLCB1_ONLL1_PGR2_PLR5_PKA0_SIA3_SLW1_SS1_SU0_SUM0_SUS0_SPO1_SRVW0_SSO8_SVW1_TSGRA0_TSGRB0_TT8_32_TLDS1_UMLDSA1_UMLDSB0_USFGROn1_VAW1_VSn1_VW1_VWB1_VFLRP0_WSGRA0_WSGRB0_WG16_16_1_WGM12_preloaded: // Kernel start when preloading
s_setprio 3                                        // optimization store

/* Load Kernel Args */
_s_load_b512 s[24:39], s[sgprKernArgAddress:sgprKernArgAddress+1], 0x0 // 
_s_load_b512 s[40:55], s[sgprKernArgAddress:sgprKernArgAddress+1], 0x40 // 
_s_load_b32 s56, s[sgprKernArgAddress:sgprKernArgAddress+1], 0x80 // 
s_mov_b32 m0, 0x9000                               // LDS clamp at 36864 bytes
v_mov_b32 v[vgprSerial], v0                        // thread serial id

/******************************************/
/* Local Read Addresses                   */
/******************************************/


/* local read addresses: tile assignments a/b */

/*lr0I*/
v_and_b32 v1, 63, v[vgprSerial]                    // 0. thread id in wave: wtid = tid % wavelength(64)
v_and_b32 v0, 15, v1                               // 1. N offset: nIdx = wtid % MI_N(16)
v_lshlrev_b32 v0, 0x4, v0                          // 1. N offset: nOffset = nIdx * nStride(16)
                                                   // 2. block offset: bnIdx = bnIdx % num1DBlocks(1) is 0. do nothing
                                                   // 4. apply VectorWidth: bnOffset = bnOffset * vw(1) (multiplier is 1, do nothing)
v_lshrrev_b32 v1, 4, v1                            // 5. K offset: kIdx = wtid / (MIN(16) * MIBB(1))
v_lshlrev_b32 v1, 0x1, v1                          // 5. K offset: lrKOffset = kIdx * mStride(2)
_v_add_u32 v0, v1, v0                              // 6. offset in wave: lrOffset = bnOffset + lrKOffset
/*lr1J*/
v_and_b32 v2, 63, v[vgprSerial]                    // 0. thread id in wave: wtid = tid % wavelength(64)
v_and_b32 v1, 15, v2                               // 1. N offset: nIdx = wtid % MI_N(16)
                                                   // 1. N offset: nOffset = nIdx * nStride(1) (multiplier is 1, do nothing)
                                                   // 2. block offset: bnIdx = bnIdx % num1DBlocks(1) is 0. do nothing
                                                   // 4. apply VectorWidth: bnOffset = bnOffset * vw(1) (multiplier is 1, do nothing)
v_lshrrev_b32 v2, 4, v2                            // 5. K offset: kIdx = wtid / (MIN(16) * MIBB(1))
v_lshlrev_b32 v2, 0x8, v2                          // 5. K offset: lrKOffset = kIdx * mStride(256)
_v_add_u32 v1, v2, v1                              // 6. offset in wave: lrOffset = bnOffset + lrKOffset
v_lshrrev_b32 v3, 6, v[vgprSerial]                 // 7. wave offset in N dimen: wtid = tid / dividedForWaveId(64)
v_and_b32 v2, 3, v3                                // 7. wave offset in M dimen: wtid0 = wtid / num1DWaves(4)
v_lshlrev_b32 v2, 0x4, v2                          // 7. wave offset in M dimen: wOffset = wtid0 * W0Stride(16)
_v_add_u32 v1, v2, v1                              // 8. final local read offset: flrOffset = lrOffset + WOffset


/* local read addresses: final offsets a */

v_lshlrev_b32 v[vgprLocalReadAddrA], 0x3, v0       // Final Offset: offset = (lro0)*bpe
v_lshrrev_b32 v0, 7, v[vgprLocalReadAddrA]         // Final Offset: padding 4 per block 128
v_lshlrev_b32 v0, 0x5, v0                          // Final Offset: padding 4 per block 128
_v_add_u32 v[vgprLocalReadAddrA], v0, v[vgprLocalReadAddrA] // Final Offset: add padding 4 per block 128


/* local read addresses: final offsets b */

v_lshlrev_b32 v[vgprLocalReadAddrB], 0x3, v1       // Final Offset: offset = (lro1)*bpe


/* local read addresses: declare addresses a */

/* N/A */


/* local read addresses: declare addresses b */

_v_add_co_u32 v[vgprLocalReadAddrB+0], vcc, 0x5000, v[vgprLocalReadAddrB+0] //  += LdsOffsetB (lower)


/* global read addresses: tile offset assignment a */

/* LVCA = 8 */
/* v0 = (local)groA-tile = serial/LVCA (note (wgA*MTA) will be added to SRD) */
/* v1 = groA-unroll = serial%LVCA */
v_lshrrev_b32 v0, 3, v[vgprSerial]                 // v0 = v[vgprSerial] / 8
v_and_b32 v1, 7, v[vgprSerial]                     // v1 = v[vgprSerial] % 8
/* gro-unroll *= glvw */
v_lshlrev_b32 v1, 0x1, v1                          // v1 = v1 * 2


/* global read addresses: tile offset assignment b */

/* LVCB = 64 */
/* v2 = (local)groB-tile = serial%LVCB (note (wgB*MTB) will be added to SRD) */
/* v3 = groB-unroll = serial/LVCB */
v_lshrrev_b32 v3, 6, v[vgprSerial]                 // v3 = v[vgprSerial] / 64
v_and_b32 v2, 63, v[vgprSerial]                    // v2 = v[vgprSerial] % 64
/* gro-tile *= glvw */
v_lshlrev_b32 v2, 0x1, v2                          // v2 = v2 * 2


/******************************************/
/* Local Write Addresses                  */
/******************************************/

/* lwaTileAssignmentA = v0 */

/* lwaTileAssignmentB = v2 */

/* lwaUnrollAssignmentA = v1 */

/* lwaUnrollAssignmentB = v3 */


/* local write addresses: first offset a */

v_mul_u32_u24 v[vgprLocalWriteAddrA], 0x10, v0     // lwAL**(DepthU_Compute + PAD)
_v_add_lshl_u32 v[vgprLocalWriteAddrA], v1, v[vgprLocalWriteAddrA], 0x3 // lwFOA = (lwAA + lwAL*(DepthU+PAD))*bpe
v_lshrrev_b32 v4, 7, v[vgprLocalWriteAddrA]        // padding 4 per block 128
v_lshlrev_b32 v4, 0x5, v4                          // padding 4 per block 128
_v_add_u32 v[vgprLocalWriteAddrA], v4, v[vgprLocalWriteAddrA] // add padding 4 per block 128


/* local write addresses: first offset b */

v_mul_u32_u24 v[vgprLocalWriteAddrB], 0x80, v3     // lwBL**(MTB + PAD)
_v_add_lshl_u32 v[vgprLocalWriteAddrB], v2, v[vgprLocalWriteAddrB], 0x3 // lwFOB = (lwBB + lwBL*(MT1J+PAD))*bpe
_v_add_co_u32 v[vgprLocalWriteAddrB], vcc, 0x5000, v[vgprLocalWriteAddrB] // lwFOB = lwB1J + lwBL*MT1J + LDS_OFFSET_B=2560*8


	;; [unrolled: 1-line block ×7, first 2 shown]
s_waitcnt lgkmcnt(0)                               // wait for 132 bytes of kern args
s_mov_b64 s[sgprSrdC+0:sgprSrdC+0+1], s[sgprAddressC+0:sgprAddressC+0+1] // copy addressC
s_mov_b64 s[sgprSrdD+0:sgprSrdD+0+1], s[sgprAddressD+0:sgprAddressD+0+1] // copy addressD
s_sub_u32 s[sgprSrdA+0], s[sgprAddressA+0], 16     // pre-pad to make room for possible pointer shift
s_subb_u32 s[sgprSrdA+1], s[sgprAddressA+1], 0     // pre-pad to make room for possible pointer shift
s_sub_u32 s[sgprSrdB+0], s[sgprAddressB+0], 16     // pre-pad to make room for possible pointer shift
s_subb_u32 s[sgprSrdB+1], s[sgprAddressB+1], 0     // pre-pad to make room for possible pointer shift

.set AddressD, UNDEF
.set AddressC, UNDEF
.set AddressA, UNDEF
.set AddressB, UNDEF

/* Short circuit condition if Alpha == 0, then sumDims=0 */
v_cmp_eq_f64 vcc, s[sgprAlpha:sgprAlpha+1], 0.0    // Alpha == 0.0 ?
s_cbranch_vccz label_AlphaNonZero                  // branch if Alpha != 0
s_mov_b32 s[sgprSizesSum+0], 0x0                   // Set summation dim=0 if Alpha == 0
label_AlphaNonZero:


	;; [unrolled: 1-line block ×3, first 2 shown]
/******************************************/
/* Begin setupNewTile, isPap=False           */
/******************************************/


/* global read addresses: work-group */

/* graWorkGroup mapping */
s_mov_b32 s35, 0xaaaaaabL                          // magic number for WGM==12
s_mul_hi_u32 s33, s[sgprWorkGroup1], s35           // s_magic mul
s_mul_i32 s32, s[sgprWorkGroup1], s35              // s_magic mul
s_lshr_b64 s[32:33], s[32:33], 31                  // sMagicDiv
s_mul_i32 s33, s32, 12                             // quotient * non-magic divisor
s_sub_u32 s33, s[sgprWorkGroup1], s33              // WorkGroup1=remainder
s_mul_i32 s33, s33, s[sgprNumWorkGroups0]          // (wg1 % WGM)*nwg0
s_add_u32 s33, s33, s[sgprWorkGroup0]              // wgSerial = wg0 + (wg1 % WGM)*nwg1
s_cmp_ge_u32 s32, s[sgprNumFullBlocks]             // blockId >= numFullBlocks ?
s_cmov_b32 s35, s[sgprMagicNumberWgmRemainder1]    // 
s_cselect_b32 s34, s[sgprWgmRemainder1], 12        // 
s_mul_hi_u32 s3, s33, s35                          // s_magic mul
s_mul_i32 s2, s33, s35                             // s_magic mul
s_lshr_b64 s[2:3], s[2:3], 31                      // sMagicDiv
s_mul_i32 s[sgprWorkGroup1], s[sgprWorkGroup0], s34 // quotient * non-magic divisor
s_sub_u32 s[sgprWorkGroup1], s33, s[sgprWorkGroup1] // WorkGroup1=remainder
s_mul_i32 s32, s32, 12                             // blockId * WGM
s_add_u32 s[sgprWorkGroup1], s[sgprWorkGroup1], s32 // wg1 += blockId * WGM


/* global read addresses: unroll assignment a */

/* v1 */


/* global read addresses: unroll assignment b */

/* v3 */


/* global read addresses: other free assignments */

/* s[sgprWorkGroup2] */


/* global read addresses: tile offsets a */

v_mov_b32 v4, v0                                   // groA0I_0
_v_add_co_u32 v5, vcc, 32, v4                      // groA0I_1 += LSPA
_v_add_co_u32 v6, vcc, 32, v5                      // groA0I_2 += LSPA
_v_add_co_u32 v7, vcc, 32, v6                      // groA0I_3 += LSPA


/* global read addresses: tile offsets b */

v_mov_b32 v8, v2                                   // groB1J_0


/* global read addresses: unroll offsets a */

v_mov_b32 v9, v1                                   // groAL_0


/* global read addresses: unroll offsets b */

v_mov_b32 v10, v3                                  // groBL_0
_v_add_co_u32 v11, vcc, 4, v10                     // groBL_1 + LSPB
_v_add_co_u32 v12, vcc, 4, v11                     // groBL_2 + LSPB
_v_add_co_u32 v13, vcc, 4, v12                     // groBL_3 + LSPB


/* global read addresses: shift b */

s_mul_i32 s31, s[sgprWorkGroup1], 128              // WorkGroup[01] * MT
s_sub_u32 s31, s[sgprSizeJ], s31                   // edge = Size1J - WG*MT
s_sub_u32 s31, s31, 2                              // edge -= margin(2)
v_mov_b32 v14, s31                                 // edge vgpr = Size1J- WG*MT - margin(2)
v_min_i32 v8, v14, v8                              // offset = (offset < edge) ? offset(v8) : edge(v14)


/* global read addresses: final offsets a */

GLOBAL_OFFSET_A vgprGlobalReadOffsetA+0,  9,  4, 14 // gROA_0_0_0_0
GLOBAL_OFFSET_A vgprGlobalReadOffsetA+1,  9,  5, 14 // gROA_0_0_1_0
GLOBAL_OFFSET_A vgprGlobalReadOffsetA+2,  9,  6, 14 // gROA_0_0_2_0
GLOBAL_OFFSET_A vgprGlobalReadOffsetA+3,  9,  7, 14 // gROA_0_0_3_0


/* global read addresses: final offsets b */

GLOBAL_OFFSET_B vgprGlobalReadOffsetB+0,  8, 10, 4 // gROB_0_0_0_0
GLOBAL_OFFSET_B vgprGlobalReadOffsetB+1,  8, 11, 4 // gROB_0_0_1_0
GLOBAL_OFFSET_B vgprGlobalReadOffsetB+2,  8, 12, 4 // gROB_0_0_2_0
GLOBAL_OFFSET_B vgprGlobalReadOffsetB+3,  8, 13, 4 // gROB_0_0_3_0


/* global read addresses: addresses a */

/* max read offset = size[n] * stride[n-1] */
s_mul_hi_u32 s35, s[sgprWorkGroup0], 128           // WorkGroup[01] * MT
s_mul_i32 s34, s[sgprWorkGroup0], 128              // WorkGroup[01] * MT
s_mul_hi_u32 s35, s34, s[sgprStrideA0I]            // tlu=0, scaled tile-offset by stride
s_mul_i32 s34, s34, s[sgprStrideA0I]               // tlu=0, scaled tile-offset by stride
s_sub_u32 s[sgprShadowLimitA+0], s[sgprTensor2dSizeA], s34 // sub tileStart
s_subb_u32 s[sgprShadowLimitA+1], s[sgprTensor2dSizeA+1], s35 // sub tileStart
s_lshl_b64 s[sgprShadowLimitA:sgprShadowLimitA+1], s[sgprShadowLimitA:sgprShadowLimitA+1], 0x3 // Set limit to use bytes
s_add_u32 s[sgprShadowLimitA+0], s[sgprShadowLimitA+0], 16 // extend limit for pre-pad
s_addc_u32 s[sgprShadowLimitA+1], s[sgprShadowLimitA+1], 0 // extend limit for pre-pad
s_cmp_eq_u32 s[sgprShadowLimitA+1], 0              // are we within 2^32?
s_cselect_b32 s[sgprSrdA+2], s[sgprShadowLimitA+0], BufferLimitA // Move shadow to real if we are within 2^32
s_mul_hi_u32 s33, s[sgprStrideAK], s[sgprWorkGroup2] // Stride*WG
s_mul_i32 s32, s[sgprStrideAK], s[sgprWorkGroup2]  // Stride*WG
s_add_u32 s34, s34, s32                            // accum wg term to tilestart
s_addc_u32 s35, s35, s33                           // accum wg term to tilestart
s_lshl_b64 s[34:35], s[34:35], 0x3                 // tileStart *= BPE
s_add_u32 s[sgprSrdA+0], s[sgprSrdA+0], s34        // SRD base = Address+ tileStart0
s_addc_u32 s[sgprSrdA+1], s[sgprSrdA+1], s35       // SRD base = Address+ tileStart1
s_mov_b32 s[sgprSrdA+3], Srd127_96                 // Set bits 127_96 in SRD


/* global read addresses: addresses b */

/* max read offset = size[n] * stride[n-1] */
s_mul_hi_u32 s35, s[sgprWorkGroup1], 128           // WorkGroup[01] * MT
s_mul_i32 s34, s[sgprWorkGroup1], 128              // WorkGroup[01] * MT
s_sub_u32 s[sgprShadowLimitB+0], s[sgprTensor2dSizeB], s34 // sub tileStart
s_subb_u32 s[sgprShadowLimitB+1], s[sgprTensor2dSizeB+1], s35 // sub tileStart
s_lshl_b64 s[sgprShadowLimitB:sgprShadowLimitB+1], s[sgprShadowLimitB:sgprShadowLimitB+1], 0x3 // Set limit to use bytes
s_add_u32 s[sgprShadowLimitB+0], s[sgprShadowLimitB+0], 16 // extend limit for pre-pad
s_addc_u32 s[sgprShadowLimitB+1], s[sgprShadowLimitB+1], 0 // extend limit for pre-pad
s_cmp_eq_u32 s[sgprShadowLimitB+1], 0              // are we within 2^32?
s_cselect_b32 s[sgprSrdB+2], s[sgprShadowLimitB+0], BufferLimitB // Move shadow to real if we are within 2^32
s_mul_hi_u32 s33, s[sgprStrideBK], s[sgprWorkGroup2] // Stride*WG
s_mul_i32 s32, s[sgprStrideBK], s[sgprWorkGroup2]  // Stride*WG
s_add_u32 s34, s34, s32                            // accum wg term to tilestart
s_addc_u32 s35, s35, s33                           // accum wg term to tilestart
s_lshl_b64 s[34:35], s[34:35], 0x3                 // tileStart *= BPE
s_add_u32 s[sgprSrdB+0], s[sgprSrdB+0], s34        // SRD base = Address+ tileStart0
s_addc_u32 s[sgprSrdB+1], s[sgprSrdB+1], s35       // SRD base = Address+ tileStart1
s_mov_b32 s[sgprSrdB+3], Srd127_96                 // Set bits 127_96 in SRD


/* global read addresses: increments a */

s_mov_b32 s[sgprGlobalReadIncsA+0], DepthU*BpeA    // incrA (unrollIdx)


/* global read addresses: increments b */

s_mul_i32 s[sgprGlobalReadIncsB+0], DepthU*BpeB, s[sgprStrideBL] // incrB unrollIdx)

/* declare loop num iterations */


s_lshr_b32 s[sgprLoopCounterL], s[sgprSizesSum+0], 4 // s[sgprLoopCounterL] = s[sgprSizesSum+0] / 16
s_mov_b32 s[sgprOrigLoopCounter], s[sgprLoopCounterL] // copy loop counter

/* local read addresses: init pointers a */


/* localReadInitPointers */

/* local read addresses: init pointers b */


/* localReadInitPointers */


/* prefetch: global -> local */

s_cmp_eq_u32 s[sgprLoopCounterL], 0                // at last iteration?
s_setprio 0                                        // optimization store
s_cbranch_scc1 ShadowInitStart_10                  // skip to ShadowInitStart iter b/c numIter==0


_buffer_load_b128 v[vgprG2LA+0:vgprG2LA+0+3], v[vgprGlobalReadOffsetA+0], s[sgprSrdA:sgprSrdA+3], 0, offen offset:0 // G -> Reg 0_0_0_0
_buffer_load_b128 v[vgprG2LA+4:vgprG2LA+4+3], v[vgprGlobalReadOffsetA+1], s[sgprSrdA:sgprSrdA+3], 0, offen offset:0 // G -> Reg 0_0_1_0
_buffer_load_b128 v[vgprG2LA+8:vgprG2LA+8+3], v[vgprGlobalReadOffsetA+2], s[sgprSrdA:sgprSrdA+3], 0, offen offset:0 // G -> Reg 0_0_2_0
_buffer_load_b128 v[vgprG2LA+12:vgprG2LA+12+3], v[vgprGlobalReadOffsetA+3], s[sgprSrdA:sgprSrdA+3], 0, offen offset:0 // G -> Reg 0_0_3_0


_buffer_load_b128 v[vgprG2LB+0:vgprG2LB+0+3], v[vgprGlobalReadOffsetB+0], s[sgprSrdB:sgprSrdB+3], 0, offen offset:0 // G -> Reg 0_0_0_0
_buffer_load_b128 v[vgprG2LB+4:vgprG2LB+4+3], v[vgprGlobalReadOffsetB+1], s[sgprSrdB:sgprSrdB+3], 0, offen offset:0 // G -> Reg 0_0_1_0
_buffer_load_b128 v[vgprG2LB+8:vgprG2LB+8+3], v[vgprGlobalReadOffsetB+2], s[sgprSrdB:sgprSrdB+3], 0, offen offset:0 // G -> Reg 0_0_2_0
_buffer_load_b128 v[vgprG2LB+12:vgprG2LB+12+3], v[vgprGlobalReadOffsetB+3], s[sgprSrdB:sgprSrdB+3], 0, offen offset:0 // G -> Reg 0_0_3_0


/* global read inc A loopL */
s_add_u32 s[sgprSrdA+0], s[sgprSrdA+0], s[sgprGlobalReadIncsA+0] // gra SRD += inc(lower)
s_addc_u32  s[sgprSrdA+1], s[sgprSrdA+1], 0        // gra SRD += inc(upper)
s_sub_u32 s[sgprShadowLimitA+0], s[sgprShadowLimitA+0], s[sgprGlobalReadIncsA+0] // limit -= inc)
s_subb_u32 s[sgprShadowLimitA+1], s[sgprShadowLimitA+1], 0 // limit -= inc)
s_cmp_eq_u32 s[sgprShadowLimitA+1], 0              // are we within 2^32?
s_cmov_b32 s[sgprSrdA+2], s[sgprShadowLimitA+0]    // Move shadow to real if we are within 2^32

/* global read inc B loopL */
s_add_u32 s[sgprSrdB+0], s[sgprSrdB+0], s[sgprGlobalReadIncsB+0] // gra SRD += inc(lower)
s_addc_u32  s[sgprSrdB+1], s[sgprSrdB+1], 0        // gra SRD += inc(upper)
s_sub_u32 s[sgprShadowLimitB+0], s[sgprShadowLimitB+0], s[sgprGlobalReadIncsB+0] // limit -= inc)
s_subb_u32 s[sgprShadowLimitB+1], s[sgprShadowLimitB+1], 0 // limit -= inc)
s_cmp_eq_u32 s[sgprShadowLimitB+1], 0              // are we within 2^32?
s_cmov_b32 s[sgprSrdB+2], s[sgprShadowLimitB+0]    // Move shadow to real if we are within 2^32


/******************************************/
/* End setupNewTile, isPap=False             */
/******************************************/

ShadowInitStart_10: // 

s_mov_b32 s[sgprSrdD+2], BufferOOB                 // 
s_mov_b32 s[sgprSrdD+3], Srd127_96                 // Set bits 127_96 in post-loop SRD

s_mov_b32 s[sgprSrdC+2], BufferOOB                 // 
s_mov_b32 s[sgprSrdC+3], Srd127_96                 // Set bits 127_96 in post-loop SRD


s_mul_i32 s34, MT1, s[sgprWorkGroup1]              // <- wg1*MT1
s_mul_hi_u32 s33, s34, s[sgprStrideC1J]            // CScale s34 by Stride
s_mul_i32 s32, s34, s[sgprStrideC1J]               // CScale s34 by Stride
s_lshl_b64 s[32:33], s[32:33], 3                   // scale by bpe
s_add_u32 s[sgprSrdC+0], s[sgprSrdC+0], s32        // add lo to SRD
s_addc_u32 s[sgprSrdC+1], s[sgprSrdC+1], s33       // add hi to SRD
s_mul_hi_u32 s33, s34, s[sgprStrideD1J]            // Scale s34 by Stride
s_mul_i32 s32, s34, s[sgprStrideD1J]               // Scale s34 by Stride
s_lshl_b64 s[32:33], s[32:33], 3                   // scale by bpe
s_add_u32 s[sgprSrdD+0], s[sgprSrdD+0], s32        // add lo to SRD
s_addc_u32 s[sgprSrdD+1], s[sgprSrdD+1], s33       // add hi to SRD

s_mul_hi_u32 s33, s[sgprWorkGroup2], s[sgprStrideCK] // CScale s[sgprWorkGroup2] by Stride
s_mul_i32 s32, s[sgprWorkGroup2], s[sgprStrideCK]  // CScale s[sgprWorkGroup2] by Stride
s_lshl_b64 s[32:33], s[32:33], 3                   // scale by bpe
s_add_u32 s[sgprSrdC+0], s[sgprSrdC+0], s32        // add lo to SRD
s_addc_u32 s[sgprSrdC+1], s[sgprSrdC+1], s33       // add hi to SRD
s_mul_hi_u32 s33, s[sgprWorkGroup2], s[sgprStrideDK] // Scale s[sgprWorkGroup2] by Stride
s_mul_i32 s32, s[sgprWorkGroup2], s[sgprStrideDK]  // Scale s[sgprWorkGroup2] by Stride
s_lshl_b64 s[32:33], s[32:33], 3                   // scale by bpe
s_add_u32 s[sgprSrdD+0], s[sgprSrdD+0], s32        // add lo to SRD
s_addc_u32 s[sgprSrdD+1], s[sgprSrdD+1], s33       // add hi to SRD


	;; [unrolled: 1-line block ×3, first 2 shown]
/* initC: remove C-tile 0-0 from pool */

/* initC: remove AB-tile 0-80 from pool */
v_mov_b32 v125, 15728640                           // set out-of-bound addr
_ds_load_b64 acc[0:1], v125, offset:0              // initC
_ds_load_b64 acc[2:3], v125, offset:0              // initC
	;; [unrolled: 1-line block ×5, first 2 shown]
_ds_load_b64 acc[10:11], v125, offset:0            // initC
_ds_load_b64 acc[12:13], v125, offset:0            // initC
	;; [unrolled: 1-line block ×45, first 2 shown]
_ds_load_b64 acc[100:101], v125, offset:0          // initC
_ds_load_b64 acc[102:103], v125, offset:0          // initC
	;; [unrolled: 1-line block ×14, first 2 shown]

s_cmp_eq_u32 s[sgprLoopCounterL], 0                // at last iteration?

/* after InitC, skip to end of prefetch last iter if numIter==0 */
s_cbranch_scc0 label_NoBranch_11                   // Only branch on scc1
s_getpc_B64 s[32:33]                               // addr of next instr
s_add_i32 s34, PrefetchGlobalLastIterEnd_5, 0x4    // target branch offset
s_add_u32 s32, s32, s34                            // add target branch offset
s_addc_u32 s33, s33, 0                             // add high and carry
s_setpc_b64 s[32:33]                               // branch to PrefetchGlobalLastIterEnd_5
label_NoBranch_11:

s_waitcnt vmcnt(0)                                 // lgkmcnt=-1 vmcnt=0 8wait for global read


/* local write a */
_ds_store_b128 v[vgprLocalWriteAddrA], v[vgprG2LA+0:vgprG2LA+0+3] offset:0 // lwoA_0_0_0_0 = (0*LSCA)*(MT0I+PAD) + (0*LSPA) = 0
_ds_store_b128 v[vgprLocalWriteAddrA], v[vgprG2LA+4:vgprG2LA+4+3] offset:5120 // lwoA_0_0_1_0 = (0*LSCA)*(MT0I+PAD) + (1*LSPA) = 5120
_ds_store_b128 v[vgprLocalWriteAddrA], v[vgprG2LA+8:vgprG2LA+8+3] offset:10240 // lwoA_0_0_2_0 = (0*LSCA)*(MT0I+PAD) + (2*LSPA) = 10240
_ds_store_b128 v[vgprLocalWriteAddrA], v[vgprG2LA+12:vgprG2LA+12+3] offset:15360 // lwoA_0_0_3_0 = (0*LSCA)*(MT0I+PAD) + (3*LSPA) = 15360

/* local write b */
_ds_store_b128 v[vgprLocalWriteAddrB], v[vgprG2LB+0:vgprG2LB+0+3] offset:0 // lwoB_0_0_0_0 = (0*LSCB) + (0*LSPB)(*MT1J+PAD) = 0
_ds_store_b128 v[vgprLocalWriteAddrB], v[vgprG2LB+4:vgprG2LB+4+3] offset:4096 // lwoB_0_0_1_0 = (0*LSCB) + (1*LSPB)(*MT1J+PAD) = 4096
_ds_store_b128 v[vgprLocalWriteAddrB], v[vgprG2LB+8:vgprG2LB+8+3] offset:8192 // lwoB_0_0_2_0 = (0*LSCB) + (2*LSPB)(*MT1J+PAD) = 8192
_ds_store_b128 v[vgprLocalWriteAddrB], v[vgprG2LB+12:vgprG2LB+12+3] offset:12288 // lwoB_0_0_3_0 = (0*LSCB) + (3*LSPB)(*MT1J+PAD) = 12288


/* local write swap a */


	;; [unrolled: 1-line block ×3, first 2 shown]
/* local write swap b */


	;; [unrolled: 1-line block ×4, first 2 shown]
s_cmp_eq_u32 s[sgprLoopCounterL] 0x1               // PGR=2 but only 1 loop
s_cbranch_scc1 label_0012                          // PGR=2 but only 1 loop


_buffer_load_b128 v[vgprG2LA+0:vgprG2LA+0+3], v[vgprGlobalReadOffsetA+0], s[sgprSrdA:sgprSrdA+3], 0, offen offset:0 // G -> Reg 0_0_0_0
_buffer_load_b128 v[vgprG2LA+4:vgprG2LA+4+3], v[vgprGlobalReadOffsetA+1], s[sgprSrdA:sgprSrdA+3], 0, offen offset:0 // G -> Reg 0_0_1_0
_buffer_load_b128 v[vgprG2LA+8:vgprG2LA+8+3], v[vgprGlobalReadOffsetA+2], s[sgprSrdA:sgprSrdA+3], 0, offen offset:0 // G -> Reg 0_0_2_0
_buffer_load_b128 v[vgprG2LA+12:vgprG2LA+12+3], v[vgprGlobalReadOffsetA+3], s[sgprSrdA:sgprSrdA+3], 0, offen offset:0 // G -> Reg 0_0_3_0


_buffer_load_b128 v[vgprG2LB+0:vgprG2LB+0+3], v[vgprGlobalReadOffsetB+0], s[sgprSrdB:sgprSrdB+3], 0, offen offset:0 // G -> Reg 0_0_0_0
_buffer_load_b128 v[vgprG2LB+4:vgprG2LB+4+3], v[vgprGlobalReadOffsetB+1], s[sgprSrdB:sgprSrdB+3], 0, offen offset:0 // G -> Reg 0_0_1_0
_buffer_load_b128 v[vgprG2LB+8:vgprG2LB+8+3], v[vgprGlobalReadOffsetB+2], s[sgprSrdB:sgprSrdB+3], 0, offen offset:0 // G -> Reg 0_0_2_0
_buffer_load_b128 v[vgprG2LB+12:vgprG2LB+12+3], v[vgprGlobalReadOffsetB+3], s[sgprSrdB:sgprSrdB+3], 0, offen offset:0 // G -> Reg 0_0_3_0

label_0012:                                        // 

s_waitcnt lgkmcnt(0)                               // lgkmcnt=0 vmcnt=-10prefetch wait for local write

// Skip force waitcnt0
s_barrier //


/* local read prefetch a */

_ds_load_b128 v[vgprValuA_X0_I0+0:vgprValuA_X0_I0+0+3], v[vgprLocalReadAddrA] offset:0 // L -> Reg lro=0 swapByteOffset=0 ti=16 vIdx=0 rIdx=0 oIdx=0 buffer=0 iui=0
_ds_load_b128 v[vgprValuA_X0_I0+4:vgprValuA_X0_I0+4+3], v[vgprLocalReadAddrA] offset:2560 // L -> Reg lro=0 swapByteOffset=0 ti=16 vIdx=1 rIdx=0 oIdx=0 buffer=0 iui=0
_ds_load_b128 v[vgprValuA_X0_I0+8:vgprValuA_X0_I0+8+3], v[vgprLocalReadAddrA] offset:5120 // L -> Reg lro=0 swapByteOffset=0 ti=16 vIdx=2 rIdx=0 oIdx=0 buffer=0 iui=0
_ds_load_b128 v[vgprValuA_X0_I0+12:vgprValuA_X0_I0+12+3], v[vgprLocalReadAddrA] offset:7680 // L -> Reg lro=0 swapByteOffset=0 ti=16 vIdx=3 rIdx=0 oIdx=0 buffer=0 iui=0
_ds_load_b128 v[vgprValuA_X0_I0+16:vgprValuA_X0_I0+16+3], v[vgprLocalReadAddrA] offset:10240 // L -> Reg lro=0 swapByteOffset=0 ti=16 vIdx=4 rIdx=0 oIdx=0 buffer=0 iui=0
_ds_load_b128 v[vgprValuA_X0_I0+20:vgprValuA_X0_I0+20+3], v[vgprLocalReadAddrA] offset:12800 // L -> Reg lro=0 swapByteOffset=0 ti=16 vIdx=5 rIdx=0 oIdx=0 buffer=0 iui=0
_ds_load_b128 v[vgprValuA_X0_I0+24:vgprValuA_X0_I0+24+3], v[vgprLocalReadAddrA] offset:15360 // L -> Reg lro=0 swapByteOffset=0 ti=16 vIdx=6 rIdx=0 oIdx=0 buffer=0 iui=0
_ds_load_b128 v[vgprValuA_X0_I0+28:vgprValuA_X0_I0+28+3], v[vgprLocalReadAddrA] offset:17920 // L -> Reg lro=0 swapByteOffset=0 ti=16 vIdx=7 rIdx=0 oIdx=0 buffer=0 iui=0


/* local read prefetch b */

_ds_load_b64 v[vgprValuB_X0_I0+0:vgprValuB_X0_I0+0+1], v[vgprLocalReadAddrB] offset:0 // L -> Reg lro=0 swapByteOffset=0 ti=64 vIdx=0 rIdx=0 oIdx=0 buffer=0 iui=0
_ds_load_b64 v[vgprValuB_X0_I0+2:vgprValuB_X0_I0+2+1], v[vgprLocalReadAddrB] offset:512 // L -> Reg lro=0 swapByteOffset=0 ti=64 vIdx=1 rIdx=0 oIdx=0 buffer=0 iui=0


/* local read inc a */

/* N/A, lro->8 */
/* self.localReadDoCntA 1 self.localReadDoCntB 1 */


/* local read inc b */

/* N/A, lro->128 */
/* self.localReadDoCntA 1 self.localReadDoCntB 1 */


	;; [unrolled: 1-line block ×3, first 2 shown]
/******************************************/
/* Unrolled Loop(s) - Begin               */
/******************************************/

openLoopL_13:
s_cmp_eq_u32 s[sgprLoopCounterL], 0x1              // LoopCounterL < EndCounter
s_cbranch_scc1 label_0014                          // PGR=2 but only 1 loop, toPGR1
s_cmp_le_u32 s[sgprLoopCounterL], 0x2              // LoopCounterL < EndCounter
s_cbranch_scc1 LoopEndL_evenexit_4                 // do not enter LoopL
LoopBeginL_1:


/******************************************/
/* Unrolled Loop 1/2 - Begin              */
/******************************************/

label_0015: // LoopCopy1 


/* Begin Each Unroll: Check VGPR.checkin for INT8 LW */


	;; [unrolled: 1-line block ×3, first 2 shown]
/* iter 0 */

/*  grEndMfmaIndex:4, lwStartMfmaIndex:16, lwEndMfmaIndex:49  */
/*  numMfmaForLR:12, barrierMfmaIndex:51, LocalWritePerMfma:0.215 */
/*  mfmaIndex:0  */
s_waitcnt lgkmcnt(0)                               // lgkmcnt=0 vmcnt=-1wait for prior local read local write old=0, new=0 newLW=0 newLR=0
v_mfma_f64_16x16x4_f64 a[0+0:7+0], v[vgprValuB_X0_I0+0+0+0:vgprValuB_X0_I0+0+0+0+1], v[vgprValuA_X0_I0+0+0+0:vgprValuA_X0_I0+0+0+0+1], a[0:7]
/*  mfmaIndex:1  */
_ds_load_b128 v[vgprValuA_X2_I0+0:vgprValuA_X2_I0+0+3], v[vgprLocalReadAddrA] offset:64 // L -> Reg lro=8 swapByteOffset=0 ti=16 vIdx=0 rIdx=0 oIdx=0 buffer=2 iui=0

/* global read inc A loopL */
s_add_u32 s[sgprSrdA+0], s[sgprSrdA+0], s[sgprGlobalReadIncsA+0] // gra SRD += inc(lower)
s_addc_u32  s[sgprSrdA+1], s[sgprSrdA+1], 0        // gra SRD += inc(upper)
s_sub_u32 s[sgprShadowLimitA+0], s[sgprShadowLimitA+0], s[sgprGlobalReadIncsA+0] // limit -= inc)
v_mfma_f64_16x16x4_f64 a[8+0:15+0], v[vgprValuB_X0_I0+0+0+0:vgprValuB_X0_I0+0+0+0+1], v[vgprValuA_X0_I0+4+0+0:vgprValuA_X0_I0+4+0+0+1], a[8:15]
/*  mfmaIndex:2  */
_ds_load_b64 v[vgprValuB_X1_I0+0:vgprValuB_X1_I0+0+1], v[vgprLocalReadAddrB] offset:1024 // L -> Reg lro=128 swapByteOffset=0 ti=64 vIdx=0 rIdx=0 oIdx=0 buffer=1 iui=0
s_subb_u32 s[sgprShadowLimitA+1], s[sgprShadowLimitA+1], 0 // limit -= inc)
s_cmp_eq_u32 s[sgprShadowLimitA+1], 0              // are we within 2^32?
s_cmov_b32 s[sgprSrdA+2], s[sgprShadowLimitA+0]    // Move shadow to real if we are within 2^32
v_mfma_f64_16x16x4_f64 a[16+0:23+0], v[vgprValuB_X0_I0+0+0+0:vgprValuB_X0_I0+0+0+0+1], v[vgprValuA_X0_I0+8+0+0:vgprValuA_X0_I0+8+0+0+1], a[16:23]
/*  mfmaIndex:3  */
_ds_load_b128 v[vgprValuA_X2_I0+4:vgprValuA_X2_I0+4+3], v[vgprLocalReadAddrA] offset:2624 // L -> Reg lro=8 swapByteOffset=0 ti=16 vIdx=1 rIdx=0 oIdx=0 buffer=2 iui=0

/* global read inc B loopL */
s_add_u32 s[sgprSrdB+0], s[sgprSrdB+0], s[sgprGlobalReadIncsB+0] // gra SRD += inc(lower)
s_addc_u32  s[sgprSrdB+1], s[sgprSrdB+1], 0        // gra SRD += inc(upper)
s_sub_u32 s[sgprShadowLimitB+0], s[sgprShadowLimitB+0], s[sgprGlobalReadIncsB+0] // limit -= inc)
v_mfma_f64_16x16x4_f64 a[24+0:31+0], v[vgprValuB_X0_I0+0+0+0:vgprValuB_X0_I0+0+0+0+1], v[vgprValuA_X0_I0+12+0+0:vgprValuA_X0_I0+12+0+0+1], a[24:31]
/*  mfmaIndex:4  */
_ds_load_b128 v[vgprValuA_X2_I0+8:vgprValuA_X2_I0+8+3], v[vgprLocalReadAddrA] offset:5184 // L -> Reg lro=8 swapByteOffset=0 ti=16 vIdx=2 rIdx=0 oIdx=0 buffer=2 iui=0
s_subb_u32 s[sgprShadowLimitB+1], s[sgprShadowLimitB+1], 0 // limit -= inc)
s_cmp_eq_u32 s[sgprShadowLimitB+1], 0              // are we within 2^32?
s_cmov_b32 s[sgprSrdB+2], s[sgprShadowLimitB+0]    // Move shadow to real if we are within 2^32
v_mfma_f64_16x16x4_f64 a[32+0:39+0], v[vgprValuB_X0_I0+0+0+0:vgprValuB_X0_I0+0+0+0+1], v[vgprValuA_X0_I0+16+0+0:vgprValuA_X0_I0+16+0+0+1], a[32:39]
/*  mfmaIndex:5  */
_ds_load_b128 v[vgprValuA_X2_I0+12:vgprValuA_X2_I0+12+3], v[vgprLocalReadAddrA] offset:7744 // L -> Reg lro=8 swapByteOffset=0 ti=16 vIdx=3 rIdx=0 oIdx=0 buffer=2 iui=0
v_mfma_f64_16x16x4_f64 a[40+0:47+0], v[vgprValuB_X0_I0+0+0+0:vgprValuB_X0_I0+0+0+0+1], v[vgprValuA_X0_I0+20+0+0:vgprValuA_X0_I0+20+0+0+1], a[40:47]
/*  mfmaIndex:6  */
_ds_load_b128 v[vgprValuA_X2_I0+16:vgprValuA_X2_I0+16+3], v[vgprLocalReadAddrA] offset:10304 // L -> Reg lro=8 swapByteOffset=0 ti=16 vIdx=4 rIdx=0 oIdx=0 buffer=2 iui=0
	;; [unrolled: 3-line block ×5, first 2 shown]
v_mfma_f64_16x16x4_f64 a[112+0:119+0], v[vgprValuB_X0_I0+2+0+0:vgprValuB_X0_I0+2+0+0+1], v[vgprValuA_X0_I0+24+0+0:vgprValuA_X0_I0+24+0+0+1], a[112:119]
/*  mfmaIndex:10  */
_ds_load_b64 v[vgprValuB_X1_I0+2:vgprValuB_X1_I0+2+1], v[vgprLocalReadAddrB] offset:1536 // L -> Reg lro=128 swapByteOffset=0 ti=64 vIdx=1 rIdx=0 oIdx=0 buffer=1 iui=0
/* localReadsVacancy: latencyLeft 3 */
_ds_load_b64 v[vgprValuB_X2_I0+0:vgprValuB_X2_I0+0+1], v[vgprLocalReadAddrB] offset:8192 // L -> Reg lro=1024 swapByteOffset=0 ti=64 vIdx=0 rIdx=0 oIdx=0 buffer=2 iui=0
v_mfma_f64_16x16x4_f64 a[104+0:111+0], v[vgprValuB_X0_I0+2+0+0:vgprValuB_X0_I0+2+0+0+1], v[vgprValuA_X0_I0+20+0+0:vgprValuA_X0_I0+20+0+0+1], a[104:111]
/*  mfmaIndex:11  */
/* localReadsVacancy: latencyLeft 5 */
_ds_load_b64 v[vgprValuB_X2_I0+2:vgprValuB_X2_I0+2+1], v[vgprLocalReadAddrB] offset:8704 // L -> Reg lro=1024 swapByteOffset=0 ti=64 vIdx=1 rIdx=0 oIdx=0 buffer=2 iui=0
_ds_load_b64 v[vgprValuB_X3_I0+0:vgprValuB_X3_I0+0+1], v[vgprLocalReadAddrB] offset:9216 // L -> Reg lro=1152 swapByteOffset=0 ti=64 vIdx=0 rIdx=0 oIdx=0 buffer=3 iui=0
v_mfma_f64_16x16x4_f64 a[96+0:103+0], v[vgprValuB_X0_I0+2+0+0:vgprValuB_X0_I0+2+0+0+1], v[vgprValuA_X0_I0+16+0+0:vgprValuA_X0_I0+16+0+0+1], a[96:103]
/*  mfmaIndex:12  */
/* localReadsVacancy: latencyLeft 5 */
_ds_load_b64 v[vgprValuB_X3_I0+2:vgprValuB_X3_I0+2+1], v[vgprLocalReadAddrB] offset:9728 // L -> Reg lro=1152 swapByteOffset=0 ti=64 vIdx=1 rIdx=0 oIdx=0 buffer=3 iui=0
v_mfma_f64_16x16x4_f64 a[88+0:95+0], v[vgprValuB_X0_I0+2+0+0:vgprValuB_X0_I0+2+0+0+1], v[vgprValuA_X0_I0+12+0+0:vgprValuA_X0_I0+12+0+0+1], a[88:95]
/*  mfmaIndex:13  */
/* localReadsVacancy: latencyLeft 5 */
v_mfma_f64_16x16x4_f64 a[80+0:87+0], v[vgprValuB_X0_I0+2+0+0:vgprValuB_X0_I0+2+0+0+1], v[vgprValuA_X0_I0+8+0+0:vgprValuA_X0_I0+8+0+0+1], a[80:87]
/*  mfmaIndex:14  */
/* localReadsVacancy: latencyLeft 5 */
	;; [unrolled: 3-line block ×3, first 2 shown]
/* 1 LDS buffer: read-sync-write */
s_waitcnt lgkmcnt(0)                               // 
s_barrier                                          // 
v_mfma_f64_16x16x4_f64 a[64+0:71+0], v[vgprValuB_X0_I0+2+0+0:vgprValuB_X0_I0+2+0+0+1], v[vgprValuA_X0_I0+0+0+0:vgprValuA_X0_I0+0+0+0+1], a[64:71]
/* numPrefetchIter=0 */
/* dataAtIterA=-1 numReadsIterA=1 skipReadsIterA=1 readsPerIterA=8 */
/* dataAtIterB=-1 numReadsIterB=1 skipReadsIterB=1 readsPerIterB=2 */


/* iter 1 */

/*  grEndMfmaIndex:4, lwStartMfmaIndex:16, lwEndMfmaIndex:49  */
/*  numMfmaForLR:12, barrierMfmaIndex:51, LocalWritePerMfma:0.215 */
/*  mfmaIndex:16  */
s_setprio 3                                        // store optimization
/* sched write - iter 1 writesPerItem=1 */
s_waitcnt vmcnt(0)                                 // lgkmcnt=-1 vmcnt=0wait for global read before writing to local
_ds_store_b128 v[vgprLocalWriteAddrA], v[vgprG2LA+0:vgprG2LA+0+3] offset:0 // lwoA_0_0_0_0 = (0*LSCA)*(MT0I+PAD) + (0*LSPA) = 0
s_waitcnt lgkmcnt(5)                               // lgkmcnt=0 vmcnt=-1wait for prior local read local write old=2, new=3 newLW=1 newLR=0
v_mfma_f64_16x16x4_f64 a[0+0:7+0], v[vgprValuB_X1_I0+0+0+0:vgprValuB_X1_I0+0+0+0+1], v[vgprValuA_X0_I0+0+2+0:vgprValuA_X0_I0+0+2+0+1], a[0:7]
/*  mfmaIndex:17  */
_buffer_load_b128 v[vgprG2LA+0:vgprG2LA+0+3], v[vgprGlobalReadOffsetA+0], s[sgprSrdA:sgprSrdA+3], 0, offen offset:0 // G -> Reg 0_0_0_0
v_mfma_f64_16x16x4_f64 a[8+0:15+0], v[vgprValuB_X1_I0+0+0+0:vgprValuB_X1_I0+0+0+0+1], v[vgprValuA_X0_I0+4+2+0:vgprValuA_X0_I0+4+2+0+1], a[8:15]
/*  mfmaIndex:18  */
v_mfma_f64_16x16x4_f64 a[16+0:23+0], v[vgprValuB_X1_I0+0+0+0:vgprValuB_X1_I0+0+0+0+1], v[vgprValuA_X0_I0+8+2+0:vgprValuA_X0_I0+8+2+0+1], a[16:23]
/*  mfmaIndex:19  */
	;; [unrolled: 2-line block ×3, first 2 shown]
/* sched write - iter 1 writesPerItem=1 */
s_waitcnt vmcnt(0)                                 // lgkmcnt=-1 vmcnt=0wait for global read before writing to local
_ds_store_b128 v[vgprLocalWriteAddrA], v[vgprG2LA+4:vgprG2LA+4+3] offset:5120 // lwoA_0_0_1_0 = (0*LSCA)*(MT0I+PAD) + (1*LSPA) = 5120
v_mfma_f64_16x16x4_f64 a[32+0:39+0], v[vgprValuB_X1_I0+0+0+0:vgprValuB_X1_I0+0+0+0+1], v[vgprValuA_X0_I0+16+2+0:vgprValuA_X0_I0+16+2+0+1], a[32:39]
/*  mfmaIndex:21  */
_buffer_load_b128 v[vgprG2LA+4:vgprG2LA+4+3], v[vgprGlobalReadOffsetA+1], s[sgprSrdA:sgprSrdA+3], 0, offen offset:0 // G -> Reg 0_0_1_0
v_mfma_f64_16x16x4_f64 a[40+0:47+0], v[vgprValuB_X1_I0+0+0+0:vgprValuB_X1_I0+0+0+0+1], v[vgprValuA_X0_I0+20+2+0:vgprValuA_X0_I0+20+2+0+1], a[40:47]
/*  mfmaIndex:22  */
v_mfma_f64_16x16x4_f64 a[48+0:55+0], v[vgprValuB_X1_I0+0+0+0:vgprValuB_X1_I0+0+0+0+1], v[vgprValuA_X0_I0+24+2+0:vgprValuA_X0_I0+24+2+0+1], a[48:55]
/*  mfmaIndex:23  */
	;; [unrolled: 2-line block ×4, first 2 shown]
/* sched write - iter 1 writesPerItem=1 */
s_waitcnt vmcnt(0)                                 // lgkmcnt=-1 vmcnt=0wait for global read before writing to local
_ds_store_b128 v[vgprLocalWriteAddrA], v[vgprG2LA+8:vgprG2LA+8+3] offset:10240 // lwoA_0_0_2_0 = (0*LSCA)*(MT0I+PAD) + (2*LSPA) = 10240
v_mfma_f64_16x16x4_f64 a[112+0:119+0], v[vgprValuB_X1_I0+2+0+0:vgprValuB_X1_I0+2+0+0+1], v[vgprValuA_X0_I0+24+2+0:vgprValuA_X0_I0+24+2+0+1], a[112:119]
/*  mfmaIndex:26  */
_buffer_load_b128 v[vgprG2LA+8:vgprG2LA+8+3], v[vgprGlobalReadOffsetA+2], s[sgprSrdA:sgprSrdA+3], 0, offen offset:0 // G -> Reg 0_0_2_0
v_mfma_f64_16x16x4_f64 a[104+0:111+0], v[vgprValuB_X1_I0+2+0+0:vgprValuB_X1_I0+2+0+0+1], v[vgprValuA_X0_I0+20+2+0:vgprValuA_X0_I0+20+2+0+1], a[104:111]
/*  mfmaIndex:27  */
v_mfma_f64_16x16x4_f64 a[96+0:103+0], v[vgprValuB_X1_I0+2+0+0:vgprValuB_X1_I0+2+0+0+1], v[vgprValuA_X0_I0+16+2+0:vgprValuA_X0_I0+16+2+0+1], a[96:103]
/*  mfmaIndex:28  */
v_mfma_f64_16x16x4_f64 a[88+0:95+0], v[vgprValuB_X1_I0+2+0+0:vgprValuB_X1_I0+2+0+0+1], v[vgprValuA_X0_I0+12+2+0:vgprValuA_X0_I0+12+2+0+1], a[88:95]
/*  mfmaIndex:29  */
/* sched write - iter 1 writesPerItem=1 */
s_waitcnt vmcnt(0)                                 // lgkmcnt=-1 vmcnt=0wait for global read before writing to local
_ds_store_b128 v[vgprLocalWriteAddrA], v[vgprG2LA+12:vgprG2LA+12+3] offset:15360 // lwoA_0_0_3_0 = (0*LSCA)*(MT0I+PAD) + (3*LSPA) = 15360
v_mfma_f64_16x16x4_f64 a[80+0:87+0], v[vgprValuB_X1_I0+2+0+0:vgprValuB_X1_I0+2+0+0+1], v[vgprValuA_X0_I0+8+2+0:vgprValuA_X0_I0+8+2+0+1], a[80:87]
/*  mfmaIndex:30  */
_buffer_load_b128 v[vgprG2LA+12:vgprG2LA+12+3], v[vgprGlobalReadOffsetA+3], s[sgprSrdA:sgprSrdA+3], 0, offen offset:0 // G -> Reg 0_0_3_0
v_mfma_f64_16x16x4_f64 a[72+0:79+0], v[vgprValuB_X1_I0+2+0+0:vgprValuB_X1_I0+2+0+0+1], v[vgprValuA_X0_I0+4+2+0:vgprValuA_X0_I0+4+2+0+1], a[72:79]
/*  mfmaIndex:31  */
v_mfma_f64_16x16x4_f64 a[64+0:71+0], v[vgprValuB_X1_I0+2+0+0:vgprValuB_X1_I0+2+0+0+1], v[vgprValuA_X0_I0+0+2+0:vgprValuA_X0_I0+0+2+0+1], a[64:71]
/* numPrefetchIter=0 */
/* dataAtIterA=-1 numReadsIterA=1 skipReadsIterA=0 readsPerIterA=8 */
/* dataAtIterB=0 numReadsIterB=2 skipReadsIterB=1 readsPerIterB=2 */


/* iter 2 (reset local read pointers iteration)  (swap local read pointers iteration)  */

/*  grEndMfmaIndex:4, lwStartMfmaIndex:16, lwEndMfmaIndex:49  */
/*  numMfmaForLR:12, barrierMfmaIndex:51, LocalWritePerMfma:0.215 */
/*  mfmaIndex:32  */
v_mfma_f64_16x16x4_f64 a[0+0:7+0], v[vgprValuB_X2_I0+0+0+0:vgprValuB_X2_I0+0+0+0+1], v[vgprValuA_X2_I0+0+0+0:vgprValuA_X2_I0+0+0+0+1], a[0:7]
/*  mfmaIndex:33  */
v_mfma_f64_16x16x4_f64 a[8+0:15+0], v[vgprValuB_X2_I0+0+0+0:vgprValuB_X2_I0+0+0+0+1], v[vgprValuA_X2_I0+4+0+0:vgprValuA_X2_I0+4+0+0+1], a[8:15]
/*  mfmaIndex:34  */
/* sched write - iter 2 writesPerItem=1 */
s_waitcnt vmcnt(0)                                 // lgkmcnt=-1 vmcnt=0wait for global read before writing to local
_ds_store_b128 v[vgprLocalWriteAddrB], v[vgprG2LB+0:vgprG2LB+0+3] offset:0 // lwoB_0_0_0_0 = (0*LSCB) + (0*LSPB)(*MT1J+PAD) = 0
v_mfma_f64_16x16x4_f64 a[16+0:23+0], v[vgprValuB_X2_I0+0+0+0:vgprValuB_X2_I0+0+0+0+1], v[vgprValuA_X2_I0+8+0+0:vgprValuA_X2_I0+8+0+0+1], a[16:23]
/*  mfmaIndex:35  */
_buffer_load_b128 v[vgprG2LB+0:vgprG2LB+0+3], v[vgprGlobalReadOffsetB+0], s[sgprSrdB:sgprSrdB+3], 0, offen offset:0 // G -> Reg 0_0_0_0
v_mfma_f64_16x16x4_f64 a[24+0:31+0], v[vgprValuB_X2_I0+0+0+0:vgprValuB_X2_I0+0+0+0+1], v[vgprValuA_X2_I0+12+0+0:vgprValuA_X2_I0+12+0+0+1], a[24:31]
/*  mfmaIndex:36  */
v_mfma_f64_16x16x4_f64 a[32+0:39+0], v[vgprValuB_X2_I0+0+0+0:vgprValuB_X2_I0+0+0+0+1], v[vgprValuA_X2_I0+16+0+0:vgprValuA_X2_I0+16+0+0+1], a[32:39]
/*  mfmaIndex:37  */
	;; [unrolled: 2-line block ×4, first 2 shown]
/* sched write - iter 2 writesPerItem=1 */
s_waitcnt vmcnt(0)                                 // lgkmcnt=-1 vmcnt=0wait for global read before writing to local
_ds_store_b128 v[vgprLocalWriteAddrB], v[vgprG2LB+4:vgprG2LB+4+3] offset:4096 // lwoB_0_0_1_0 = (0*LSCB) + (1*LSPB)(*MT1J+PAD) = 4096
v_mfma_f64_16x16x4_f64 a[56+0:63+0], v[vgprValuB_X2_I0+0+0+0:vgprValuB_X2_I0+0+0+0+1], v[vgprValuA_X2_I0+28+0+0:vgprValuA_X2_I0+28+0+0+1], a[56:63]
/*  mfmaIndex:40  */
_buffer_load_b128 v[vgprG2LB+4:vgprG2LB+4+3], v[vgprGlobalReadOffsetB+1], s[sgprSrdB:sgprSrdB+3], 0, offen offset:0 // G -> Reg 0_0_1_0
v_mfma_f64_16x16x4_f64 a[120+0:127+0], v[vgprValuB_X2_I0+2+0+0:vgprValuB_X2_I0+2+0+0+1], v[vgprValuA_X2_I0+28+0+0:vgprValuA_X2_I0+28+0+0+1], a[120:127]
/*  mfmaIndex:41  */
v_mfma_f64_16x16x4_f64 a[112+0:119+0], v[vgprValuB_X2_I0+2+0+0:vgprValuB_X2_I0+2+0+0+1], v[vgprValuA_X2_I0+24+0+0:vgprValuA_X2_I0+24+0+0+1], a[112:119]
/*  mfmaIndex:42  */
	;; [unrolled: 2-line block ×3, first 2 shown]
/* sched write - iter 2 writesPerItem=1 */
s_waitcnt vmcnt(0)                                 // lgkmcnt=-1 vmcnt=0wait for global read before writing to local
_ds_store_b128 v[vgprLocalWriteAddrB], v[vgprG2LB+8:vgprG2LB+8+3] offset:8192 // lwoB_0_0_2_0 = (0*LSCB) + (2*LSPB)(*MT1J+PAD) = 8192
v_mfma_f64_16x16x4_f64 a[96+0:103+0], v[vgprValuB_X2_I0+2+0+0:vgprValuB_X2_I0+2+0+0+1], v[vgprValuA_X2_I0+16+0+0:vgprValuA_X2_I0+16+0+0+1], a[96:103]
/*  mfmaIndex:44  */
_buffer_load_b128 v[vgprG2LB+8:vgprG2LB+8+3], v[vgprGlobalReadOffsetB+2], s[sgprSrdB:sgprSrdB+3], 0, offen offset:0 // G -> Reg 0_0_2_0
v_mfma_f64_16x16x4_f64 a[88+0:95+0], v[vgprValuB_X2_I0+2+0+0:vgprValuB_X2_I0+2+0+0+1], v[vgprValuA_X2_I0+12+0+0:vgprValuA_X2_I0+12+0+0+1], a[88:95]
/*  mfmaIndex:45  */
v_mfma_f64_16x16x4_f64 a[80+0:87+0], v[vgprValuB_X2_I0+2+0+0:vgprValuB_X2_I0+2+0+0+1], v[vgprValuA_X2_I0+8+0+0:vgprValuA_X2_I0+8+0+0+1], a[80:87]
/*  mfmaIndex:46  */
	;; [unrolled: 2-line block ×3, first 2 shown]

/* local read swap offsets a */

/* local read swap offsets b */

/* local read init pointers a */

/* localReadInitPointers */

/* local read init pointers b */

/* localReadInitPointers */
v_mfma_f64_16x16x4_f64 a[64+0:71+0], v[vgprValuB_X2_I0+2+0+0:vgprValuB_X2_I0+2+0+0+1], v[vgprValuA_X2_I0+0+0+0:vgprValuA_X2_I0+0+0+0+1], a[64:71]


/* iter 3 (swap and reset local write pointers iteration)  */

/*  grEndMfmaIndex:4, lwStartMfmaIndex:16, lwEndMfmaIndex:49  */
/*  numMfmaForLR:12, barrierMfmaIndex:51, LocalWritePerMfma:0.215 */
/*  mfmaIndex:48  */
/* sched write - iter 3 writesPerItem=1 */
s_waitcnt vmcnt(0)                                 // lgkmcnt=-1 vmcnt=0wait for global read before writing to local
_ds_store_b128 v[vgprLocalWriteAddrB], v[vgprG2LB+12:vgprG2LB+12+3] offset:12288 // lwoB_0_0_3_0 = (0*LSCB) + (3*LSPB)(*MT1J+PAD) = 12288
v_mfma_f64_16x16x4_f64 a[0+0:7+0], v[vgprValuB_X3_I0+0+0+0:vgprValuB_X3_I0+0+0+0+1], v[vgprValuA_X2_I0+0+2+0:vgprValuA_X2_I0+0+2+0+1], a[0:7]
/*  mfmaIndex:49  */
_buffer_load_b128 v[vgprG2LB+12:vgprG2LB+12+3], v[vgprGlobalReadOffsetB+3], s[sgprSrdB:sgprSrdB+3], 0, offen offset:0 // G -> Reg 0_0_3_0

/* local write swap offsets a */

/* local write swap offsets b */
v_mfma_f64_16x16x4_f64 a[8+0:15+0], v[vgprValuB_X3_I0+0+0+0:vgprValuB_X3_I0+0+0+0+1], v[vgprValuA_X2_I0+4+2+0:vgprValuA_X2_I0+4+2+0+1], a[8:15]
/*  mfmaIndex:50  */
v_mfma_f64_16x16x4_f64 a[16+0:23+0], v[vgprValuB_X3_I0+0+0+0:vgprValuB_X3_I0+0+0+0+1], v[vgprValuA_X2_I0+8+2+0:vgprValuA_X2_I0+8+2+0+1], a[16:23]
s_setprio 0                                        // store optimization
/*  mfmaIndex:51  */
s_waitcnt lgkmcnt(0)                               // lgkmcnt=0 vmcnt=-13wait for local write
// Skip force waitcnt0
s_barrier //
v_mfma_f64_16x16x4_f64 a[24+0:31+0], v[vgprValuB_X3_I0+0+0+0:vgprValuB_X3_I0+0+0+0+1], v[vgprValuA_X2_I0+12+2+0:vgprValuA_X2_I0+12+2+0+1], a[24:31]
/*  mfmaIndex:52  */
s_setprio 3                                        // store optimization
_ds_load_b128 v[vgprValuA_X0_I0+0:vgprValuA_X0_I0+0+3], v[vgprLocalReadAddrA] offset:0 // L -> Reg lro=0 swapByteOffset=0 ti=16 vIdx=0 rIdx=0 oIdx=0 buffer=0 iui=0
v_mfma_f64_16x16x4_f64 a[32+0:39+0], v[vgprValuB_X3_I0+0+0+0:vgprValuB_X3_I0+0+0+0+1], v[vgprValuA_X2_I0+16+2+0:vgprValuA_X2_I0+16+2+0+1], a[32:39]
/*  mfmaIndex:53  */
_ds_load_b64 v[vgprValuB_X0_I0+0:vgprValuB_X0_I0+0+1], v[vgprLocalReadAddrB] offset:0 // L -> Reg lro=0 swapByteOffset=0 ti=64 vIdx=0 rIdx=0 oIdx=0 buffer=0 iui=0
v_mfma_f64_16x16x4_f64 a[40+0:47+0], v[vgprValuB_X3_I0+0+0+0:vgprValuB_X3_I0+0+0+0+1], v[vgprValuA_X2_I0+20+2+0:vgprValuA_X2_I0+20+2+0+1], a[40:47]
/*  mfmaIndex:54  */
_ds_load_b128 v[vgprValuA_X0_I0+4:vgprValuA_X0_I0+4+3], v[vgprLocalReadAddrA] offset:2560 // L -> Reg lro=0 swapByteOffset=0 ti=16 vIdx=1 rIdx=0 oIdx=0 buffer=0 iui=0
v_mfma_f64_16x16x4_f64 a[48+0:55+0], v[vgprValuB_X3_I0+0+0+0:vgprValuB_X3_I0+0+0+0+1], v[vgprValuA_X2_I0+24+2+0:vgprValuA_X2_I0+24+2+0+1], a[48:55]
/*  mfmaIndex:55  */
_ds_load_b128 v[vgprValuA_X0_I0+8:vgprValuA_X0_I0+8+3], v[vgprLocalReadAddrA] offset:5120 // L -> Reg lro=0 swapByteOffset=0 ti=16 vIdx=2 rIdx=0 oIdx=0 buffer=0 iui=0
	;; [unrolled: 3-line block ×7, first 2 shown]
v_mfma_f64_16x16x4_f64 a[88+0:95+0], v[vgprValuB_X3_I0+2+0+0:vgprValuB_X3_I0+2+0+0+1], v[vgprValuA_X2_I0+12+2+0:vgprValuA_X2_I0+12+2+0+1], a[88:95]
/*  mfmaIndex:61  */
_ds_load_b64 v[vgprValuB_X0_I0+2:vgprValuB_X0_I0+2+1], v[vgprLocalReadAddrB] offset:512 // L -> Reg lro=0 swapByteOffset=0 ti=64 vIdx=1 rIdx=0 oIdx=0 buffer=0 iui=0
v_mfma_f64_16x16x4_f64 a[80+0:87+0], v[vgprValuB_X3_I0+2+0+0:vgprValuB_X3_I0+2+0+0+1], v[vgprValuA_X2_I0+8+2+0:vgprValuA_X2_I0+8+2+0+1], a[80:87]
/*  mfmaIndex:62  */
v_mfma_f64_16x16x4_f64 a[72+0:79+0], v[vgprValuB_X3_I0+2+0+0:vgprValuB_X3_I0+2+0+0+1], v[vgprValuA_X2_I0+4+2+0:vgprValuA_X2_I0+4+2+0+1], a[72:79]
/*  mfmaIndex:63  */
v_mfma_f64_16x16x4_f64 a[64+0:71+0], v[vgprValuB_X3_I0+2+0+0:vgprValuB_X3_I0+2+0+0+1], v[vgprValuA_X2_I0+0+2+0:vgprValuA_X2_I0+0+2+0+1], a[64:71]
s_setprio 0                                        // store optimization


/******************************************/
/* Unrolled Loop - End 1/2                */
/******************************************/


/* closeLoop loopL finalLoop=0 tailLoop=0 */
s_sub_u32 s[sgprLoopCounterL], s[sgprLoopCounterL], 1 // dec counterL
s_cmp_eq_i32 s[sgprLoopCounterL], 0x2              // counterL==2
s_cbranch_scc1 LoopEndL_oddexit_3                  // exit LoopL


/******************************************/
/* Unrolled Loop 2/2 - Begin              */
/******************************************/

label_0016: // LoopCopy2 


/* Begin Each Unroll: Check VGPR.checkin for INT8 LW */


	;; [unrolled: 1-line block ×3, first 2 shown]
/* iter 0 */

/*  grEndMfmaIndex:4, lwStartMfmaIndex:16, lwEndMfmaIndex:49  */
/*  numMfmaForLR:12, barrierMfmaIndex:51, LocalWritePerMfma:0.215 */
/*  mfmaIndex:0  */
s_waitcnt lgkmcnt(0)                               // lgkmcnt=0 vmcnt=-1wait for prior local read local write old=0, new=0 newLW=0 newLR=0
v_mfma_f64_16x16x4_f64 a[0+0:7+0], v[vgprValuB_X0_I0+0+0+0:vgprValuB_X0_I0+0+0+0+1], v[vgprValuA_X0_I0+0+0+0:vgprValuA_X0_I0+0+0+0+1], a[0:7]
/*  mfmaIndex:1  */
_ds_load_b128 v[vgprValuA_X2_I0+0:vgprValuA_X2_I0+0+3], v[vgprLocalReadAddrA] offset:64 // L -> Reg lro=8 swapByteOffset=0 ti=16 vIdx=0 rIdx=0 oIdx=0 buffer=2 iui=0

/* global read inc A loopL */
s_add_u32 s[sgprSrdA+0], s[sgprSrdA+0], s[sgprGlobalReadIncsA+0] // gra SRD += inc(lower)
s_addc_u32  s[sgprSrdA+1], s[sgprSrdA+1], 0        // gra SRD += inc(upper)
s_sub_u32 s[sgprShadowLimitA+0], s[sgprShadowLimitA+0], s[sgprGlobalReadIncsA+0] // limit -= inc)
v_mfma_f64_16x16x4_f64 a[8+0:15+0], v[vgprValuB_X0_I0+0+0+0:vgprValuB_X0_I0+0+0+0+1], v[vgprValuA_X0_I0+4+0+0:vgprValuA_X0_I0+4+0+0+1], a[8:15]
/*  mfmaIndex:2  */
_ds_load_b64 v[vgprValuB_X1_I0+0:vgprValuB_X1_I0+0+1], v[vgprLocalReadAddrB] offset:1024 // L -> Reg lro=128 swapByteOffset=0 ti=64 vIdx=0 rIdx=0 oIdx=0 buffer=1 iui=0
s_subb_u32 s[sgprShadowLimitA+1], s[sgprShadowLimitA+1], 0 // limit -= inc)
s_cmp_eq_u32 s[sgprShadowLimitA+1], 0              // are we within 2^32?
s_cmov_b32 s[sgprSrdA+2], s[sgprShadowLimitA+0]    // Move shadow to real if we are within 2^32
v_mfma_f64_16x16x4_f64 a[16+0:23+0], v[vgprValuB_X0_I0+0+0+0:vgprValuB_X0_I0+0+0+0+1], v[vgprValuA_X0_I0+8+0+0:vgprValuA_X0_I0+8+0+0+1], a[16:23]
/*  mfmaIndex:3  */
_ds_load_b128 v[vgprValuA_X2_I0+4:vgprValuA_X2_I0+4+3], v[vgprLocalReadAddrA] offset:2624 // L -> Reg lro=8 swapByteOffset=0 ti=16 vIdx=1 rIdx=0 oIdx=0 buffer=2 iui=0

/* global read inc B loopL */
s_add_u32 s[sgprSrdB+0], s[sgprSrdB+0], s[sgprGlobalReadIncsB+0] // gra SRD += inc(lower)
s_addc_u32  s[sgprSrdB+1], s[sgprSrdB+1], 0        // gra SRD += inc(upper)
s_sub_u32 s[sgprShadowLimitB+0], s[sgprShadowLimitB+0], s[sgprGlobalReadIncsB+0] // limit -= inc)
v_mfma_f64_16x16x4_f64 a[24+0:31+0], v[vgprValuB_X0_I0+0+0+0:vgprValuB_X0_I0+0+0+0+1], v[vgprValuA_X0_I0+12+0+0:vgprValuA_X0_I0+12+0+0+1], a[24:31]
/*  mfmaIndex:4  */
_ds_load_b128 v[vgprValuA_X2_I0+8:vgprValuA_X2_I0+8+3], v[vgprLocalReadAddrA] offset:5184 // L -> Reg lro=8 swapByteOffset=0 ti=16 vIdx=2 rIdx=0 oIdx=0 buffer=2 iui=0
s_subb_u32 s[sgprShadowLimitB+1], s[sgprShadowLimitB+1], 0 // limit -= inc)
s_cmp_eq_u32 s[sgprShadowLimitB+1], 0              // are we within 2^32?
s_cmov_b32 s[sgprSrdB+2], s[sgprShadowLimitB+0]    // Move shadow to real if we are within 2^32
v_mfma_f64_16x16x4_f64 a[32+0:39+0], v[vgprValuB_X0_I0+0+0+0:vgprValuB_X0_I0+0+0+0+1], v[vgprValuA_X0_I0+16+0+0:vgprValuA_X0_I0+16+0+0+1], a[32:39]
/*  mfmaIndex:5  */
_ds_load_b128 v[vgprValuA_X2_I0+12:vgprValuA_X2_I0+12+3], v[vgprLocalReadAddrA] offset:7744 // L -> Reg lro=8 swapByteOffset=0 ti=16 vIdx=3 rIdx=0 oIdx=0 buffer=2 iui=0
v_mfma_f64_16x16x4_f64 a[40+0:47+0], v[vgprValuB_X0_I0+0+0+0:vgprValuB_X0_I0+0+0+0+1], v[vgprValuA_X0_I0+20+0+0:vgprValuA_X0_I0+20+0+0+1], a[40:47]
/*  mfmaIndex:6  */
_ds_load_b128 v[vgprValuA_X2_I0+16:vgprValuA_X2_I0+16+3], v[vgprLocalReadAddrA] offset:10304 // L -> Reg lro=8 swapByteOffset=0 ti=16 vIdx=4 rIdx=0 oIdx=0 buffer=2 iui=0
	;; [unrolled: 3-line block ×5, first 2 shown]
v_mfma_f64_16x16x4_f64 a[112+0:119+0], v[vgprValuB_X0_I0+2+0+0:vgprValuB_X0_I0+2+0+0+1], v[vgprValuA_X0_I0+24+0+0:vgprValuA_X0_I0+24+0+0+1], a[112:119]
/*  mfmaIndex:10  */
_ds_load_b64 v[vgprValuB_X1_I0+2:vgprValuB_X1_I0+2+1], v[vgprLocalReadAddrB] offset:1536 // L -> Reg lro=128 swapByteOffset=0 ti=64 vIdx=1 rIdx=0 oIdx=0 buffer=1 iui=0
/* localReadsVacancy: latencyLeft 3 */
_ds_load_b64 v[vgprValuB_X2_I0+0:vgprValuB_X2_I0+0+1], v[vgprLocalReadAddrB] offset:8192 // L -> Reg lro=1024 swapByteOffset=0 ti=64 vIdx=0 rIdx=0 oIdx=0 buffer=2 iui=0
v_mfma_f64_16x16x4_f64 a[104+0:111+0], v[vgprValuB_X0_I0+2+0+0:vgprValuB_X0_I0+2+0+0+1], v[vgprValuA_X0_I0+20+0+0:vgprValuA_X0_I0+20+0+0+1], a[104:111]
/*  mfmaIndex:11  */
/* localReadsVacancy: latencyLeft 5 */
_ds_load_b64 v[vgprValuB_X2_I0+2:vgprValuB_X2_I0+2+1], v[vgprLocalReadAddrB] offset:8704 // L -> Reg lro=1024 swapByteOffset=0 ti=64 vIdx=1 rIdx=0 oIdx=0 buffer=2 iui=0
_ds_load_b64 v[vgprValuB_X3_I0+0:vgprValuB_X3_I0+0+1], v[vgprLocalReadAddrB] offset:9216 // L -> Reg lro=1152 swapByteOffset=0 ti=64 vIdx=0 rIdx=0 oIdx=0 buffer=3 iui=0
v_mfma_f64_16x16x4_f64 a[96+0:103+0], v[vgprValuB_X0_I0+2+0+0:vgprValuB_X0_I0+2+0+0+1], v[vgprValuA_X0_I0+16+0+0:vgprValuA_X0_I0+16+0+0+1], a[96:103]
/*  mfmaIndex:12  */
/* localReadsVacancy: latencyLeft 5 */
_ds_load_b64 v[vgprValuB_X3_I0+2:vgprValuB_X3_I0+2+1], v[vgprLocalReadAddrB] offset:9728 // L -> Reg lro=1152 swapByteOffset=0 ti=64 vIdx=1 rIdx=0 oIdx=0 buffer=3 iui=0
v_mfma_f64_16x16x4_f64 a[88+0:95+0], v[vgprValuB_X0_I0+2+0+0:vgprValuB_X0_I0+2+0+0+1], v[vgprValuA_X0_I0+12+0+0:vgprValuA_X0_I0+12+0+0+1], a[88:95]
/*  mfmaIndex:13  */
/* localReadsVacancy: latencyLeft 5 */
v_mfma_f64_16x16x4_f64 a[80+0:87+0], v[vgprValuB_X0_I0+2+0+0:vgprValuB_X0_I0+2+0+0+1], v[vgprValuA_X0_I0+8+0+0:vgprValuA_X0_I0+8+0+0+1], a[80:87]
/*  mfmaIndex:14  */
/* localReadsVacancy: latencyLeft 5 */
	;; [unrolled: 3-line block ×3, first 2 shown]
/* 1 LDS buffer: read-sync-write */
s_waitcnt lgkmcnt(0)                               // 
s_barrier                                          // 
v_mfma_f64_16x16x4_f64 a[64+0:71+0], v[vgprValuB_X0_I0+2+0+0:vgprValuB_X0_I0+2+0+0+1], v[vgprValuA_X0_I0+0+0+0:vgprValuA_X0_I0+0+0+0+1], a[64:71]
/* numPrefetchIter=0 */
/* dataAtIterA=-1 numReadsIterA=1 skipReadsIterA=1 readsPerIterA=8 */
/* dataAtIterB=-1 numReadsIterB=1 skipReadsIterB=1 readsPerIterB=2 */


/* iter 1 */

/*  grEndMfmaIndex:4, lwStartMfmaIndex:16, lwEndMfmaIndex:49  */
/*  numMfmaForLR:12, barrierMfmaIndex:51, LocalWritePerMfma:0.215 */
/*  mfmaIndex:16  */
s_setprio 3                                        // store optimization
/* sched write - iter 1 writesPerItem=1 */
s_waitcnt vmcnt(0)                                 // lgkmcnt=-1 vmcnt=0wait for global read before writing to local
_ds_store_b128 v[vgprLocalWriteAddrA], v[vgprG2LA+0:vgprG2LA+0+3] offset:0 // lwoA_0_0_0_0 = (0*LSCA)*(MT0I+PAD) + (0*LSPA) = 0
s_waitcnt lgkmcnt(5)                               // lgkmcnt=0 vmcnt=-1wait for prior local read local write old=2, new=3 newLW=1 newLR=0
v_mfma_f64_16x16x4_f64 a[0+0:7+0], v[vgprValuB_X1_I0+0+0+0:vgprValuB_X1_I0+0+0+0+1], v[vgprValuA_X0_I0+0+2+0:vgprValuA_X0_I0+0+2+0+1], a[0:7]
/*  mfmaIndex:17  */
_buffer_load_b128 v[vgprG2LA+0:vgprG2LA+0+3], v[vgprGlobalReadOffsetA+0], s[sgprSrdA:sgprSrdA+3], 0, offen offset:0 // G -> Reg 0_0_0_0
v_mfma_f64_16x16x4_f64 a[8+0:15+0], v[vgprValuB_X1_I0+0+0+0:vgprValuB_X1_I0+0+0+0+1], v[vgprValuA_X0_I0+4+2+0:vgprValuA_X0_I0+4+2+0+1], a[8:15]
/*  mfmaIndex:18  */
v_mfma_f64_16x16x4_f64 a[16+0:23+0], v[vgprValuB_X1_I0+0+0+0:vgprValuB_X1_I0+0+0+0+1], v[vgprValuA_X0_I0+8+2+0:vgprValuA_X0_I0+8+2+0+1], a[16:23]
/*  mfmaIndex:19  */
	;; [unrolled: 2-line block ×3, first 2 shown]
/* sched write - iter 1 writesPerItem=1 */
s_waitcnt vmcnt(0)                                 // lgkmcnt=-1 vmcnt=0wait for global read before writing to local
_ds_store_b128 v[vgprLocalWriteAddrA], v[vgprG2LA+4:vgprG2LA+4+3] offset:5120 // lwoA_0_0_1_0 = (0*LSCA)*(MT0I+PAD) + (1*LSPA) = 5120
v_mfma_f64_16x16x4_f64 a[32+0:39+0], v[vgprValuB_X1_I0+0+0+0:vgprValuB_X1_I0+0+0+0+1], v[vgprValuA_X0_I0+16+2+0:vgprValuA_X0_I0+16+2+0+1], a[32:39]
/*  mfmaIndex:21  */
_buffer_load_b128 v[vgprG2LA+4:vgprG2LA+4+3], v[vgprGlobalReadOffsetA+1], s[sgprSrdA:sgprSrdA+3], 0, offen offset:0 // G -> Reg 0_0_1_0
v_mfma_f64_16x16x4_f64 a[40+0:47+0], v[vgprValuB_X1_I0+0+0+0:vgprValuB_X1_I0+0+0+0+1], v[vgprValuA_X0_I0+20+2+0:vgprValuA_X0_I0+20+2+0+1], a[40:47]
/*  mfmaIndex:22  */
v_mfma_f64_16x16x4_f64 a[48+0:55+0], v[vgprValuB_X1_I0+0+0+0:vgprValuB_X1_I0+0+0+0+1], v[vgprValuA_X0_I0+24+2+0:vgprValuA_X0_I0+24+2+0+1], a[48:55]
/*  mfmaIndex:23  */
	;; [unrolled: 2-line block ×4, first 2 shown]
/* sched write - iter 1 writesPerItem=1 */
s_waitcnt vmcnt(0)                                 // lgkmcnt=-1 vmcnt=0wait for global read before writing to local
_ds_store_b128 v[vgprLocalWriteAddrA], v[vgprG2LA+8:vgprG2LA+8+3] offset:10240 // lwoA_0_0_2_0 = (0*LSCA)*(MT0I+PAD) + (2*LSPA) = 10240
v_mfma_f64_16x16x4_f64 a[112+0:119+0], v[vgprValuB_X1_I0+2+0+0:vgprValuB_X1_I0+2+0+0+1], v[vgprValuA_X0_I0+24+2+0:vgprValuA_X0_I0+24+2+0+1], a[112:119]
/*  mfmaIndex:26  */
_buffer_load_b128 v[vgprG2LA+8:vgprG2LA+8+3], v[vgprGlobalReadOffsetA+2], s[sgprSrdA:sgprSrdA+3], 0, offen offset:0 // G -> Reg 0_0_2_0
v_mfma_f64_16x16x4_f64 a[104+0:111+0], v[vgprValuB_X1_I0+2+0+0:vgprValuB_X1_I0+2+0+0+1], v[vgprValuA_X0_I0+20+2+0:vgprValuA_X0_I0+20+2+0+1], a[104:111]
/*  mfmaIndex:27  */
v_mfma_f64_16x16x4_f64 a[96+0:103+0], v[vgprValuB_X1_I0+2+0+0:vgprValuB_X1_I0+2+0+0+1], v[vgprValuA_X0_I0+16+2+0:vgprValuA_X0_I0+16+2+0+1], a[96:103]
/*  mfmaIndex:28  */
	;; [unrolled: 2-line block ×3, first 2 shown]
/* sched write - iter 1 writesPerItem=1 */
s_waitcnt vmcnt(0)                                 // lgkmcnt=-1 vmcnt=0wait for global read before writing to local
_ds_store_b128 v[vgprLocalWriteAddrA], v[vgprG2LA+12:vgprG2LA+12+3] offset:15360 // lwoA_0_0_3_0 = (0*LSCA)*(MT0I+PAD) + (3*LSPA) = 15360
v_mfma_f64_16x16x4_f64 a[80+0:87+0], v[vgprValuB_X1_I0+2+0+0:vgprValuB_X1_I0+2+0+0+1], v[vgprValuA_X0_I0+8+2+0:vgprValuA_X0_I0+8+2+0+1], a[80:87]
/*  mfmaIndex:30  */
_buffer_load_b128 v[vgprG2LA+12:vgprG2LA+12+3], v[vgprGlobalReadOffsetA+3], s[sgprSrdA:sgprSrdA+3], 0, offen offset:0 // G -> Reg 0_0_3_0
v_mfma_f64_16x16x4_f64 a[72+0:79+0], v[vgprValuB_X1_I0+2+0+0:vgprValuB_X1_I0+2+0+0+1], v[vgprValuA_X0_I0+4+2+0:vgprValuA_X0_I0+4+2+0+1], a[72:79]
/*  mfmaIndex:31  */
v_mfma_f64_16x16x4_f64 a[64+0:71+0], v[vgprValuB_X1_I0+2+0+0:vgprValuB_X1_I0+2+0+0+1], v[vgprValuA_X0_I0+0+2+0:vgprValuA_X0_I0+0+2+0+1], a[64:71]
/* numPrefetchIter=0 */
/* dataAtIterA=-1 numReadsIterA=1 skipReadsIterA=0 readsPerIterA=8 */
/* dataAtIterB=0 numReadsIterB=2 skipReadsIterB=1 readsPerIterB=2 */


/* iter 2 (reset local read pointers iteration)  (swap local read pointers iteration)  */

/*  grEndMfmaIndex:4, lwStartMfmaIndex:16, lwEndMfmaIndex:49  */
/*  numMfmaForLR:12, barrierMfmaIndex:51, LocalWritePerMfma:0.215 */
/*  mfmaIndex:32  */
v_mfma_f64_16x16x4_f64 a[0+0:7+0], v[vgprValuB_X2_I0+0+0+0:vgprValuB_X2_I0+0+0+0+1], v[vgprValuA_X2_I0+0+0+0:vgprValuA_X2_I0+0+0+0+1], a[0:7]
/*  mfmaIndex:33  */
v_mfma_f64_16x16x4_f64 a[8+0:15+0], v[vgprValuB_X2_I0+0+0+0:vgprValuB_X2_I0+0+0+0+1], v[vgprValuA_X2_I0+4+0+0:vgprValuA_X2_I0+4+0+0+1], a[8:15]
/*  mfmaIndex:34  */
/* sched write - iter 2 writesPerItem=1 */
s_waitcnt vmcnt(0)                                 // lgkmcnt=-1 vmcnt=0wait for global read before writing to local
_ds_store_b128 v[vgprLocalWriteAddrB], v[vgprG2LB+0:vgprG2LB+0+3] offset:0 // lwoB_0_0_0_0 = (0*LSCB) + (0*LSPB)(*MT1J+PAD) = 0
v_mfma_f64_16x16x4_f64 a[16+0:23+0], v[vgprValuB_X2_I0+0+0+0:vgprValuB_X2_I0+0+0+0+1], v[vgprValuA_X2_I0+8+0+0:vgprValuA_X2_I0+8+0+0+1], a[16:23]
/*  mfmaIndex:35  */
_buffer_load_b128 v[vgprG2LB+0:vgprG2LB+0+3], v[vgprGlobalReadOffsetB+0], s[sgprSrdB:sgprSrdB+3], 0, offen offset:0 // G -> Reg 0_0_0_0
v_mfma_f64_16x16x4_f64 a[24+0:31+0], v[vgprValuB_X2_I0+0+0+0:vgprValuB_X2_I0+0+0+0+1], v[vgprValuA_X2_I0+12+0+0:vgprValuA_X2_I0+12+0+0+1], a[24:31]
/*  mfmaIndex:36  */
v_mfma_f64_16x16x4_f64 a[32+0:39+0], v[vgprValuB_X2_I0+0+0+0:vgprValuB_X2_I0+0+0+0+1], v[vgprValuA_X2_I0+16+0+0:vgprValuA_X2_I0+16+0+0+1], a[32:39]
/*  mfmaIndex:37  */
	;; [unrolled: 2-line block ×4, first 2 shown]
/* sched write - iter 2 writesPerItem=1 */
s_waitcnt vmcnt(0)                                 // lgkmcnt=-1 vmcnt=0wait for global read before writing to local
_ds_store_b128 v[vgprLocalWriteAddrB], v[vgprG2LB+4:vgprG2LB+4+3] offset:4096 // lwoB_0_0_1_0 = (0*LSCB) + (1*LSPB)(*MT1J+PAD) = 4096
v_mfma_f64_16x16x4_f64 a[56+0:63+0], v[vgprValuB_X2_I0+0+0+0:vgprValuB_X2_I0+0+0+0+1], v[vgprValuA_X2_I0+28+0+0:vgprValuA_X2_I0+28+0+0+1], a[56:63]
/*  mfmaIndex:40  */
_buffer_load_b128 v[vgprG2LB+4:vgprG2LB+4+3], v[vgprGlobalReadOffsetB+1], s[sgprSrdB:sgprSrdB+3], 0, offen offset:0 // G -> Reg 0_0_1_0
v_mfma_f64_16x16x4_f64 a[120+0:127+0], v[vgprValuB_X2_I0+2+0+0:vgprValuB_X2_I0+2+0+0+1], v[vgprValuA_X2_I0+28+0+0:vgprValuA_X2_I0+28+0+0+1], a[120:127]
/*  mfmaIndex:41  */
v_mfma_f64_16x16x4_f64 a[112+0:119+0], v[vgprValuB_X2_I0+2+0+0:vgprValuB_X2_I0+2+0+0+1], v[vgprValuA_X2_I0+24+0+0:vgprValuA_X2_I0+24+0+0+1], a[112:119]
/*  mfmaIndex:42  */
v_mfma_f64_16x16x4_f64 a[104+0:111+0], v[vgprValuB_X2_I0+2+0+0:vgprValuB_X2_I0+2+0+0+1], v[vgprValuA_X2_I0+20+0+0:vgprValuA_X2_I0+20+0+0+1], a[104:111]
/*  mfmaIndex:43  */
/* sched write - iter 2 writesPerItem=1 */
s_waitcnt vmcnt(0)                                 // lgkmcnt=-1 vmcnt=0wait for global read before writing to local
_ds_store_b128 v[vgprLocalWriteAddrB], v[vgprG2LB+8:vgprG2LB+8+3] offset:8192 // lwoB_0_0_2_0 = (0*LSCB) + (2*LSPB)(*MT1J+PAD) = 8192
v_mfma_f64_16x16x4_f64 a[96+0:103+0], v[vgprValuB_X2_I0+2+0+0:vgprValuB_X2_I0+2+0+0+1], v[vgprValuA_X2_I0+16+0+0:vgprValuA_X2_I0+16+0+0+1], a[96:103]
/*  mfmaIndex:44  */
_buffer_load_b128 v[vgprG2LB+8:vgprG2LB+8+3], v[vgprGlobalReadOffsetB+2], s[sgprSrdB:sgprSrdB+3], 0, offen offset:0 // G -> Reg 0_0_2_0
v_mfma_f64_16x16x4_f64 a[88+0:95+0], v[vgprValuB_X2_I0+2+0+0:vgprValuB_X2_I0+2+0+0+1], v[vgprValuA_X2_I0+12+0+0:vgprValuA_X2_I0+12+0+0+1], a[88:95]
/*  mfmaIndex:45  */
v_mfma_f64_16x16x4_f64 a[80+0:87+0], v[vgprValuB_X2_I0+2+0+0:vgprValuB_X2_I0+2+0+0+1], v[vgprValuA_X2_I0+8+0+0:vgprValuA_X2_I0+8+0+0+1], a[80:87]
/*  mfmaIndex:46  */
	;; [unrolled: 2-line block ×3, first 2 shown]

/* local read swap offsets a */

/* local read swap offsets b */

/* local read init pointers a */

/* localReadInitPointers */

/* local read init pointers b */

/* localReadInitPointers */
v_mfma_f64_16x16x4_f64 a[64+0:71+0], v[vgprValuB_X2_I0+2+0+0:vgprValuB_X2_I0+2+0+0+1], v[vgprValuA_X2_I0+0+0+0:vgprValuA_X2_I0+0+0+0+1], a[64:71]


/* iter 3 (swap and reset local write pointers iteration)  */

/*  grEndMfmaIndex:4, lwStartMfmaIndex:16, lwEndMfmaIndex:49  */
/*  numMfmaForLR:12, barrierMfmaIndex:51, LocalWritePerMfma:0.215 */
/*  mfmaIndex:48  */
/* sched write - iter 3 writesPerItem=1 */
s_waitcnt vmcnt(0)                                 // lgkmcnt=-1 vmcnt=0wait for global read before writing to local
_ds_store_b128 v[vgprLocalWriteAddrB], v[vgprG2LB+12:vgprG2LB+12+3] offset:12288 // lwoB_0_0_3_0 = (0*LSCB) + (3*LSPB)(*MT1J+PAD) = 12288
v_mfma_f64_16x16x4_f64 a[0+0:7+0], v[vgprValuB_X3_I0+0+0+0:vgprValuB_X3_I0+0+0+0+1], v[vgprValuA_X2_I0+0+2+0:vgprValuA_X2_I0+0+2+0+1], a[0:7]
/*  mfmaIndex:49  */
_buffer_load_b128 v[vgprG2LB+12:vgprG2LB+12+3], v[vgprGlobalReadOffsetB+3], s[sgprSrdB:sgprSrdB+3], 0, offen offset:0 // G -> Reg 0_0_3_0

/* local write swap offsets a */

/* local write swap offsets b */
v_mfma_f64_16x16x4_f64 a[8+0:15+0], v[vgprValuB_X3_I0+0+0+0:vgprValuB_X3_I0+0+0+0+1], v[vgprValuA_X2_I0+4+2+0:vgprValuA_X2_I0+4+2+0+1], a[8:15]
/*  mfmaIndex:50  */
v_mfma_f64_16x16x4_f64 a[16+0:23+0], v[vgprValuB_X3_I0+0+0+0:vgprValuB_X3_I0+0+0+0+1], v[vgprValuA_X2_I0+8+2+0:vgprValuA_X2_I0+8+2+0+1], a[16:23]
s_setprio 0                                        // store optimization
/*  mfmaIndex:51  */
s_waitcnt lgkmcnt(0)                               // lgkmcnt=0 vmcnt=-13wait for local write
// Skip force waitcnt0
s_barrier //
v_mfma_f64_16x16x4_f64 a[24+0:31+0], v[vgprValuB_X3_I0+0+0+0:vgprValuB_X3_I0+0+0+0+1], v[vgprValuA_X2_I0+12+2+0:vgprValuA_X2_I0+12+2+0+1], a[24:31]
/*  mfmaIndex:52  */
s_setprio 3                                        // store optimization
_ds_load_b128 v[vgprValuA_X0_I0+0:vgprValuA_X0_I0+0+3], v[vgprLocalReadAddrA] offset:0 // L -> Reg lro=0 swapByteOffset=0 ti=16 vIdx=0 rIdx=0 oIdx=0 buffer=0 iui=0
v_mfma_f64_16x16x4_f64 a[32+0:39+0], v[vgprValuB_X3_I0+0+0+0:vgprValuB_X3_I0+0+0+0+1], v[vgprValuA_X2_I0+16+2+0:vgprValuA_X2_I0+16+2+0+1], a[32:39]
/*  mfmaIndex:53  */
_ds_load_b64 v[vgprValuB_X0_I0+0:vgprValuB_X0_I0+0+1], v[vgprLocalReadAddrB] offset:0 // L -> Reg lro=0 swapByteOffset=0 ti=64 vIdx=0 rIdx=0 oIdx=0 buffer=0 iui=0
v_mfma_f64_16x16x4_f64 a[40+0:47+0], v[vgprValuB_X3_I0+0+0+0:vgprValuB_X3_I0+0+0+0+1], v[vgprValuA_X2_I0+20+2+0:vgprValuA_X2_I0+20+2+0+1], a[40:47]
/*  mfmaIndex:54  */
_ds_load_b128 v[vgprValuA_X0_I0+4:vgprValuA_X0_I0+4+3], v[vgprLocalReadAddrA] offset:2560 // L -> Reg lro=0 swapByteOffset=0 ti=16 vIdx=1 rIdx=0 oIdx=0 buffer=0 iui=0
v_mfma_f64_16x16x4_f64 a[48+0:55+0], v[vgprValuB_X3_I0+0+0+0:vgprValuB_X3_I0+0+0+0+1], v[vgprValuA_X2_I0+24+2+0:vgprValuA_X2_I0+24+2+0+1], a[48:55]
/*  mfmaIndex:55  */
_ds_load_b128 v[vgprValuA_X0_I0+8:vgprValuA_X0_I0+8+3], v[vgprLocalReadAddrA] offset:5120 // L -> Reg lro=0 swapByteOffset=0 ti=16 vIdx=2 rIdx=0 oIdx=0 buffer=0 iui=0
	;; [unrolled: 3-line block ×7, first 2 shown]
v_mfma_f64_16x16x4_f64 a[88+0:95+0], v[vgprValuB_X3_I0+2+0+0:vgprValuB_X3_I0+2+0+0+1], v[vgprValuA_X2_I0+12+2+0:vgprValuA_X2_I0+12+2+0+1], a[88:95]
/*  mfmaIndex:61  */
_ds_load_b64 v[vgprValuB_X0_I0+2:vgprValuB_X0_I0+2+1], v[vgprLocalReadAddrB] offset:512 // L -> Reg lro=0 swapByteOffset=0 ti=64 vIdx=1 rIdx=0 oIdx=0 buffer=0 iui=0
v_mfma_f64_16x16x4_f64 a[80+0:87+0], v[vgprValuB_X3_I0+2+0+0:vgprValuB_X3_I0+2+0+0+1], v[vgprValuA_X2_I0+8+2+0:vgprValuA_X2_I0+8+2+0+1], a[80:87]
/*  mfmaIndex:62  */
v_mfma_f64_16x16x4_f64 a[72+0:79+0], v[vgprValuB_X3_I0+2+0+0:vgprValuB_X3_I0+2+0+0+1], v[vgprValuA_X2_I0+4+2+0:vgprValuA_X2_I0+4+2+0+1], a[72:79]
/*  mfmaIndex:63  */
v_mfma_f64_16x16x4_f64 a[64+0:71+0], v[vgprValuB_X3_I0+2+0+0:vgprValuB_X3_I0+2+0+0+1], v[vgprValuA_X2_I0+0+2+0:vgprValuA_X2_I0+0+2+0+1], a[64:71]
s_setprio 0                                        // store optimization


/******************************************/
/* Unrolled Loop - End 2/2 (final)        */
/******************************************/


/* closeLoop loopL finalLoop=1 tailLoop=0 */
s_sub_u32 s[sgprLoopCounterL], s[sgprLoopCounterL], 1 // dec counterL
s_cmp_eq_i32 s[sgprLoopCounterL], 0x2              // counterL==2
s_cbranch_scc0 LoopBeginL_1                        // restart LoopL
LoopEndL_evenexit_4: // unroll loop eveniter exit
s_branch LoopEndL_2                                // exit unroll loopL (and skip second exit code)
LoopEndL_oddexit_3: // unroll loop odditer exit

/* Select high bank of LDS */
LoopEndL_2:


/* Before NLL: Check VGPR.checkin for INT8 LW */


/******************************************/
/* Ord. NoGlobalLoadLoop - Begin                                      */
/******************************************/



/* iter 0 */

/*  grEndMfmaIndex:4, lwStartMfmaIndex:16, lwEndMfmaIndex:49  */
/*  numMfmaForLR:12, barrierMfmaIndex:51, LocalWritePerMfma:0.215 */
/*  mfmaIndex:0  */
s_waitcnt lgkmcnt(0)                               // lgkmcnt=0 vmcnt=-1wait for prior local read local write old=0, new=0 newLW=0 newLR=0
v_mfma_f64_16x16x4_f64 a[0+0:7+0], v[vgprValuB_X0_I0+0+0+0:vgprValuB_X0_I0+0+0+0+1], v[vgprValuA_X0_I0+0+0+0:vgprValuA_X0_I0+0+0+0+1], a[0:7]
/*  mfmaIndex:1  */
_ds_load_b128 v[vgprValuA_X2_I0+0:vgprValuA_X2_I0+0+3], v[vgprLocalReadAddrA] offset:64 // L -> Reg lro=8 swapByteOffset=0 ti=16 vIdx=0 rIdx=0 oIdx=0 buffer=2 iui=0

/* global read inc A loopL */
s_add_u32 s[sgprSrdA+0], s[sgprSrdA+0], s[sgprGlobalReadIncsA+0] // gra SRD += inc(lower)
s_addc_u32  s[sgprSrdA+1], s[sgprSrdA+1], 0        // gra SRD += inc(upper)
s_sub_u32 s[sgprShadowLimitA+0], s[sgprShadowLimitA+0], s[sgprGlobalReadIncsA+0] // limit -= inc)
v_mfma_f64_16x16x4_f64 a[8+0:15+0], v[vgprValuB_X0_I0+0+0+0:vgprValuB_X0_I0+0+0+0+1], v[vgprValuA_X0_I0+4+0+0:vgprValuA_X0_I0+4+0+0+1], a[8:15]
/*  mfmaIndex:2  */
_ds_load_b64 v[vgprValuB_X1_I0+0:vgprValuB_X1_I0+0+1], v[vgprLocalReadAddrB] offset:1024 // L -> Reg lro=128 swapByteOffset=0 ti=64 vIdx=0 rIdx=0 oIdx=0 buffer=1 iui=0
s_subb_u32 s[sgprShadowLimitA+1], s[sgprShadowLimitA+1], 0 // limit -= inc)
s_cmp_eq_u32 s[sgprShadowLimitA+1], 0              // are we within 2^32?
s_cmov_b32 s[sgprSrdA+2], s[sgprShadowLimitA+0]    // Move shadow to real if we are within 2^32
v_mfma_f64_16x16x4_f64 a[16+0:23+0], v[vgprValuB_X0_I0+0+0+0:vgprValuB_X0_I0+0+0+0+1], v[vgprValuA_X0_I0+8+0+0:vgprValuA_X0_I0+8+0+0+1], a[16:23]
/*  mfmaIndex:3  */
_ds_load_b128 v[vgprValuA_X2_I0+4:vgprValuA_X2_I0+4+3], v[vgprLocalReadAddrA] offset:2624 // L -> Reg lro=8 swapByteOffset=0 ti=16 vIdx=1 rIdx=0 oIdx=0 buffer=2 iui=0

/* global read inc B loopL */
s_add_u32 s[sgprSrdB+0], s[sgprSrdB+0], s[sgprGlobalReadIncsB+0] // gra SRD += inc(lower)
s_addc_u32  s[sgprSrdB+1], s[sgprSrdB+1], 0        // gra SRD += inc(upper)
s_sub_u32 s[sgprShadowLimitB+0], s[sgprShadowLimitB+0], s[sgprGlobalReadIncsB+0] // limit -= inc)
v_mfma_f64_16x16x4_f64 a[24+0:31+0], v[vgprValuB_X0_I0+0+0+0:vgprValuB_X0_I0+0+0+0+1], v[vgprValuA_X0_I0+12+0+0:vgprValuA_X0_I0+12+0+0+1], a[24:31]
/*  mfmaIndex:4  */
_ds_load_b128 v[vgprValuA_X2_I0+8:vgprValuA_X2_I0+8+3], v[vgprLocalReadAddrA] offset:5184 // L -> Reg lro=8 swapByteOffset=0 ti=16 vIdx=2 rIdx=0 oIdx=0 buffer=2 iui=0
s_subb_u32 s[sgprShadowLimitB+1], s[sgprShadowLimitB+1], 0 // limit -= inc)
s_cmp_eq_u32 s[sgprShadowLimitB+1], 0              // are we within 2^32?
s_cmov_b32 s[sgprSrdB+2], s[sgprShadowLimitB+0]    // Move shadow to real if we are within 2^32
v_mfma_f64_16x16x4_f64 a[32+0:39+0], v[vgprValuB_X0_I0+0+0+0:vgprValuB_X0_I0+0+0+0+1], v[vgprValuA_X0_I0+16+0+0:vgprValuA_X0_I0+16+0+0+1], a[32:39]
/*  mfmaIndex:5  */
_ds_load_b128 v[vgprValuA_X2_I0+12:vgprValuA_X2_I0+12+3], v[vgprLocalReadAddrA] offset:7744 // L -> Reg lro=8 swapByteOffset=0 ti=16 vIdx=3 rIdx=0 oIdx=0 buffer=2 iui=0
v_mfma_f64_16x16x4_f64 a[40+0:47+0], v[vgprValuB_X0_I0+0+0+0:vgprValuB_X0_I0+0+0+0+1], v[vgprValuA_X0_I0+20+0+0:vgprValuA_X0_I0+20+0+0+1], a[40:47]
/*  mfmaIndex:6  */
_ds_load_b128 v[vgprValuA_X2_I0+16:vgprValuA_X2_I0+16+3], v[vgprLocalReadAddrA] offset:10304 // L -> Reg lro=8 swapByteOffset=0 ti=16 vIdx=4 rIdx=0 oIdx=0 buffer=2 iui=0
	;; [unrolled: 3-line block ×5, first 2 shown]
v_mfma_f64_16x16x4_f64 a[112+0:119+0], v[vgprValuB_X0_I0+2+0+0:vgprValuB_X0_I0+2+0+0+1], v[vgprValuA_X0_I0+24+0+0:vgprValuA_X0_I0+24+0+0+1], a[112:119]
/*  mfmaIndex:10  */
_ds_load_b64 v[vgprValuB_X1_I0+2:vgprValuB_X1_I0+2+1], v[vgprLocalReadAddrB] offset:1536 // L -> Reg lro=128 swapByteOffset=0 ti=64 vIdx=1 rIdx=0 oIdx=0 buffer=1 iui=0
/* localReadsVacancy: latencyLeft 3 */
_ds_load_b64 v[vgprValuB_X2_I0+0:vgprValuB_X2_I0+0+1], v[vgprLocalReadAddrB] offset:8192 // L -> Reg lro=1024 swapByteOffset=0 ti=64 vIdx=0 rIdx=0 oIdx=0 buffer=2 iui=0
v_mfma_f64_16x16x4_f64 a[104+0:111+0], v[vgprValuB_X0_I0+2+0+0:vgprValuB_X0_I0+2+0+0+1], v[vgprValuA_X0_I0+20+0+0:vgprValuA_X0_I0+20+0+0+1], a[104:111]
/*  mfmaIndex:11  */
/* localReadsVacancy: latencyLeft 5 */
_ds_load_b64 v[vgprValuB_X2_I0+2:vgprValuB_X2_I0+2+1], v[vgprLocalReadAddrB] offset:8704 // L -> Reg lro=1024 swapByteOffset=0 ti=64 vIdx=1 rIdx=0 oIdx=0 buffer=2 iui=0
_ds_load_b64 v[vgprValuB_X3_I0+0:vgprValuB_X3_I0+0+1], v[vgprLocalReadAddrB] offset:9216 // L -> Reg lro=1152 swapByteOffset=0 ti=64 vIdx=0 rIdx=0 oIdx=0 buffer=3 iui=0
v_mfma_f64_16x16x4_f64 a[96+0:103+0], v[vgprValuB_X0_I0+2+0+0:vgprValuB_X0_I0+2+0+0+1], v[vgprValuA_X0_I0+16+0+0:vgprValuA_X0_I0+16+0+0+1], a[96:103]
/*  mfmaIndex:12  */
/* localReadsVacancy: latencyLeft 5 */
_ds_load_b64 v[vgprValuB_X3_I0+2:vgprValuB_X3_I0+2+1], v[vgprLocalReadAddrB] offset:9728 // L -> Reg lro=1152 swapByteOffset=0 ti=64 vIdx=1 rIdx=0 oIdx=0 buffer=3 iui=0
v_mfma_f64_16x16x4_f64 a[88+0:95+0], v[vgprValuB_X0_I0+2+0+0:vgprValuB_X0_I0+2+0+0+1], v[vgprValuA_X0_I0+12+0+0:vgprValuA_X0_I0+12+0+0+1], a[88:95]
/*  mfmaIndex:13  */
/* localReadsVacancy: latencyLeft 5 */
v_mfma_f64_16x16x4_f64 a[80+0:87+0], v[vgprValuB_X0_I0+2+0+0:vgprValuB_X0_I0+2+0+0+1], v[vgprValuA_X0_I0+8+0+0:vgprValuA_X0_I0+8+0+0+1], a[80:87]
/*  mfmaIndex:14  */
/* localReadsVacancy: latencyLeft 5 */
	;; [unrolled: 3-line block ×3, first 2 shown]
/* 1 LDS buffer: read-sync-write */
s_waitcnt lgkmcnt(0)                               // 
s_barrier                                          // 
v_mfma_f64_16x16x4_f64 a[64+0:71+0], v[vgprValuB_X0_I0+2+0+0:vgprValuB_X0_I0+2+0+0+1], v[vgprValuA_X0_I0+0+0+0:vgprValuA_X0_I0+0+0+0+1], a[64:71]
/* numPrefetchIter=0 */
/* dataAtIterA=-1 numReadsIterA=1 skipReadsIterA=1 readsPerIterA=8 */
/* dataAtIterB=-1 numReadsIterB=1 skipReadsIterB=1 readsPerIterB=2 */


/* iter 1 */

/*  grEndMfmaIndex:4, lwStartMfmaIndex:16, lwEndMfmaIndex:49  */
/*  numMfmaForLR:12, barrierMfmaIndex:51, LocalWritePerMfma:0.215 */
/*  mfmaIndex:16  */
s_setprio 3                                        // store optimization
/* sched write - iter 1 writesPerItem=1 */
s_waitcnt vmcnt(0)                                 // lgkmcnt=-1 vmcnt=0wait for global read before writing to local
_ds_store_b128 v[vgprLocalWriteAddrA], v[vgprG2LA+0:vgprG2LA+0+3] offset:0 // lwoA_0_0_0_0 = (0*LSCA)*(MT0I+PAD) + (0*LSPA) = 0
s_waitcnt lgkmcnt(5)                               // lgkmcnt=0 vmcnt=-1wait for prior local read local write old=2, new=3 newLW=1 newLR=0
v_mfma_f64_16x16x4_f64 a[0+0:7+0], v[vgprValuB_X1_I0+0+0+0:vgprValuB_X1_I0+0+0+0+1], v[vgprValuA_X0_I0+0+2+0:vgprValuA_X0_I0+0+2+0+1], a[0:7]
/*  mfmaIndex:17  */
v_mfma_f64_16x16x4_f64 a[8+0:15+0], v[vgprValuB_X1_I0+0+0+0:vgprValuB_X1_I0+0+0+0+1], v[vgprValuA_X0_I0+4+2+0:vgprValuA_X0_I0+4+2+0+1], a[8:15]
/*  mfmaIndex:18  */
	;; [unrolled: 2-line block ×4, first 2 shown]
/* sched write - iter 1 writesPerItem=1 */
s_waitcnt vmcnt(0)                                 // lgkmcnt=-1 vmcnt=0wait for global read before writing to local
_ds_store_b128 v[vgprLocalWriteAddrA], v[vgprG2LA+4:vgprG2LA+4+3] offset:5120 // lwoA_0_0_1_0 = (0*LSCA)*(MT0I+PAD) + (1*LSPA) = 5120
v_mfma_f64_16x16x4_f64 a[32+0:39+0], v[vgprValuB_X1_I0+0+0+0:vgprValuB_X1_I0+0+0+0+1], v[vgprValuA_X0_I0+16+2+0:vgprValuA_X0_I0+16+2+0+1], a[32:39]
/*  mfmaIndex:21  */
v_mfma_f64_16x16x4_f64 a[40+0:47+0], v[vgprValuB_X1_I0+0+0+0:vgprValuB_X1_I0+0+0+0+1], v[vgprValuA_X0_I0+20+2+0:vgprValuA_X0_I0+20+2+0+1], a[40:47]
/*  mfmaIndex:22  */
	;; [unrolled: 2-line block ×5, first 2 shown]
/* sched write - iter 1 writesPerItem=1 */
s_waitcnt vmcnt(0)                                 // lgkmcnt=-1 vmcnt=0wait for global read before writing to local
_ds_store_b128 v[vgprLocalWriteAddrA], v[vgprG2LA+8:vgprG2LA+8+3] offset:10240 // lwoA_0_0_2_0 = (0*LSCA)*(MT0I+PAD) + (2*LSPA) = 10240
v_mfma_f64_16x16x4_f64 a[112+0:119+0], v[vgprValuB_X1_I0+2+0+0:vgprValuB_X1_I0+2+0+0+1], v[vgprValuA_X0_I0+24+2+0:vgprValuA_X0_I0+24+2+0+1], a[112:119]
/*  mfmaIndex:26  */
v_mfma_f64_16x16x4_f64 a[104+0:111+0], v[vgprValuB_X1_I0+2+0+0:vgprValuB_X1_I0+2+0+0+1], v[vgprValuA_X0_I0+20+2+0:vgprValuA_X0_I0+20+2+0+1], a[104:111]
/*  mfmaIndex:27  */
	;; [unrolled: 2-line block ×4, first 2 shown]
/* sched write - iter 1 writesPerItem=1 */
s_waitcnt vmcnt(0)                                 // lgkmcnt=-1 vmcnt=0wait for global read before writing to local
_ds_store_b128 v[vgprLocalWriteAddrA], v[vgprG2LA+12:vgprG2LA+12+3] offset:15360 // lwoA_0_0_3_0 = (0*LSCA)*(MT0I+PAD) + (3*LSPA) = 15360
v_mfma_f64_16x16x4_f64 a[80+0:87+0], v[vgprValuB_X1_I0+2+0+0:vgprValuB_X1_I0+2+0+0+1], v[vgprValuA_X0_I0+8+2+0:vgprValuA_X0_I0+8+2+0+1], a[80:87]
/*  mfmaIndex:30  */
v_mfma_f64_16x16x4_f64 a[72+0:79+0], v[vgprValuB_X1_I0+2+0+0:vgprValuB_X1_I0+2+0+0+1], v[vgprValuA_X0_I0+4+2+0:vgprValuA_X0_I0+4+2+0+1], a[72:79]
/*  mfmaIndex:31  */
v_mfma_f64_16x16x4_f64 a[64+0:71+0], v[vgprValuB_X1_I0+2+0+0:vgprValuB_X1_I0+2+0+0+1], v[vgprValuA_X0_I0+0+2+0:vgprValuA_X0_I0+0+2+0+1], a[64:71]
/* numPrefetchIter=0 */
/* dataAtIterA=-1 numReadsIterA=1 skipReadsIterA=0 readsPerIterA=8 */
/* dataAtIterB=0 numReadsIterB=2 skipReadsIterB=1 readsPerIterB=2 */


/* iter 2 (reset local read pointers iteration)  (swap local read pointers iteration)  */

/*  grEndMfmaIndex:4, lwStartMfmaIndex:16, lwEndMfmaIndex:49  */
/*  numMfmaForLR:12, barrierMfmaIndex:51, LocalWritePerMfma:0.215 */
/*  mfmaIndex:32  */
v_mfma_f64_16x16x4_f64 a[0+0:7+0], v[vgprValuB_X2_I0+0+0+0:vgprValuB_X2_I0+0+0+0+1], v[vgprValuA_X2_I0+0+0+0:vgprValuA_X2_I0+0+0+0+1], a[0:7]
/*  mfmaIndex:33  */
v_mfma_f64_16x16x4_f64 a[8+0:15+0], v[vgprValuB_X2_I0+0+0+0:vgprValuB_X2_I0+0+0+0+1], v[vgprValuA_X2_I0+4+0+0:vgprValuA_X2_I0+4+0+0+1], a[8:15]
/*  mfmaIndex:34  */
/* sched write - iter 2 writesPerItem=1 */
s_waitcnt vmcnt(0)                                 // lgkmcnt=-1 vmcnt=0wait for global read before writing to local
_ds_store_b128 v[vgprLocalWriteAddrB], v[vgprG2LB+0:vgprG2LB+0+3] offset:0 // lwoB_0_0_0_0 = (0*LSCB) + (0*LSPB)(*MT1J+PAD) = 0
v_mfma_f64_16x16x4_f64 a[16+0:23+0], v[vgprValuB_X2_I0+0+0+0:vgprValuB_X2_I0+0+0+0+1], v[vgprValuA_X2_I0+8+0+0:vgprValuA_X2_I0+8+0+0+1], a[16:23]
/*  mfmaIndex:35  */
v_mfma_f64_16x16x4_f64 a[24+0:31+0], v[vgprValuB_X2_I0+0+0+0:vgprValuB_X2_I0+0+0+0+1], v[vgprValuA_X2_I0+12+0+0:vgprValuA_X2_I0+12+0+0+1], a[24:31]
/*  mfmaIndex:36  */
	;; [unrolled: 2-line block ×5, first 2 shown]
/* sched write - iter 2 writesPerItem=1 */
s_waitcnt vmcnt(0)                                 // lgkmcnt=-1 vmcnt=0wait for global read before writing to local
_ds_store_b128 v[vgprLocalWriteAddrB], v[vgprG2LB+4:vgprG2LB+4+3] offset:4096 // lwoB_0_0_1_0 = (0*LSCB) + (1*LSPB)(*MT1J+PAD) = 4096
v_mfma_f64_16x16x4_f64 a[56+0:63+0], v[vgprValuB_X2_I0+0+0+0:vgprValuB_X2_I0+0+0+0+1], v[vgprValuA_X2_I0+28+0+0:vgprValuA_X2_I0+28+0+0+1], a[56:63]
/*  mfmaIndex:40  */
v_mfma_f64_16x16x4_f64 a[120+0:127+0], v[vgprValuB_X2_I0+2+0+0:vgprValuB_X2_I0+2+0+0+1], v[vgprValuA_X2_I0+28+0+0:vgprValuA_X2_I0+28+0+0+1], a[120:127]
/*  mfmaIndex:41  */
	;; [unrolled: 2-line block ×4, first 2 shown]
/* sched write - iter 2 writesPerItem=1 */
s_waitcnt vmcnt(0)                                 // lgkmcnt=-1 vmcnt=0wait for global read before writing to local
_ds_store_b128 v[vgprLocalWriteAddrB], v[vgprG2LB+8:vgprG2LB+8+3] offset:8192 // lwoB_0_0_2_0 = (0*LSCB) + (2*LSPB)(*MT1J+PAD) = 8192
v_mfma_f64_16x16x4_f64 a[96+0:103+0], v[vgprValuB_X2_I0+2+0+0:vgprValuB_X2_I0+2+0+0+1], v[vgprValuA_X2_I0+16+0+0:vgprValuA_X2_I0+16+0+0+1], a[96:103]
/*  mfmaIndex:44  */
v_mfma_f64_16x16x4_f64 a[88+0:95+0], v[vgprValuB_X2_I0+2+0+0:vgprValuB_X2_I0+2+0+0+1], v[vgprValuA_X2_I0+12+0+0:vgprValuA_X2_I0+12+0+0+1], a[88:95]
/*  mfmaIndex:45  */
	;; [unrolled: 2-line block ×4, first 2 shown]

/* local read swap offsets a */

/* local read swap offsets b */

/* local read init pointers a */

/* localReadInitPointers */

/* local read init pointers b */

/* localReadInitPointers */
v_mfma_f64_16x16x4_f64 a[64+0:71+0], v[vgprValuB_X2_I0+2+0+0:vgprValuB_X2_I0+2+0+0+1], v[vgprValuA_X2_I0+0+0+0:vgprValuA_X2_I0+0+0+0+1], a[64:71]


/* iter 3 (swap and reset local write pointers iteration)  */

/*  grEndMfmaIndex:4, lwStartMfmaIndex:16, lwEndMfmaIndex:49  */
/*  numMfmaForLR:12, barrierMfmaIndex:51, LocalWritePerMfma:0.215 */
/*  mfmaIndex:48  */
/* sched write - iter 3 writesPerItem=1 */
s_waitcnt vmcnt(0)                                 // lgkmcnt=-1 vmcnt=0wait for global read before writing to local
_ds_store_b128 v[vgprLocalWriteAddrB], v[vgprG2LB+12:vgprG2LB+12+3] offset:12288 // lwoB_0_0_3_0 = (0*LSCB) + (3*LSPB)(*MT1J+PAD) = 12288
v_mfma_f64_16x16x4_f64 a[0+0:7+0], v[vgprValuB_X3_I0+0+0+0:vgprValuB_X3_I0+0+0+0+1], v[vgprValuA_X2_I0+0+2+0:vgprValuA_X2_I0+0+2+0+1], a[0:7]
/*  mfmaIndex:49  */

/* local write swap offsets a */

/* local write swap offsets b */
v_mfma_f64_16x16x4_f64 a[8+0:15+0], v[vgprValuB_X3_I0+0+0+0:vgprValuB_X3_I0+0+0+0+1], v[vgprValuA_X2_I0+4+2+0:vgprValuA_X2_I0+4+2+0+1], a[8:15]
/*  mfmaIndex:50  */
v_mfma_f64_16x16x4_f64 a[16+0:23+0], v[vgprValuB_X3_I0+0+0+0:vgprValuB_X3_I0+0+0+0+1], v[vgprValuA_X2_I0+8+2+0:vgprValuA_X2_I0+8+2+0+1], a[16:23]
s_setprio 0                                        // store optimization
/*  mfmaIndex:51  */
s_waitcnt lgkmcnt(0)                               // lgkmcnt=0 vmcnt=-13wait for local write
// Skip force waitcnt0
s_barrier //
v_mfma_f64_16x16x4_f64 a[24+0:31+0], v[vgprValuB_X3_I0+0+0+0:vgprValuB_X3_I0+0+0+0+1], v[vgprValuA_X2_I0+12+2+0:vgprValuA_X2_I0+12+2+0+1], a[24:31]
/*  mfmaIndex:52  */
s_setprio 3                                        // store optimization
_ds_load_b128 v[vgprValuA_X0_I0+0:vgprValuA_X0_I0+0+3], v[vgprLocalReadAddrA] offset:0 // L -> Reg lro=0 swapByteOffset=0 ti=16 vIdx=0 rIdx=0 oIdx=0 buffer=0 iui=0
v_mfma_f64_16x16x4_f64 a[32+0:39+0], v[vgprValuB_X3_I0+0+0+0:vgprValuB_X3_I0+0+0+0+1], v[vgprValuA_X2_I0+16+2+0:vgprValuA_X2_I0+16+2+0+1], a[32:39]
/*  mfmaIndex:53  */
_ds_load_b64 v[vgprValuB_X0_I0+0:vgprValuB_X0_I0+0+1], v[vgprLocalReadAddrB] offset:0 // L -> Reg lro=0 swapByteOffset=0 ti=64 vIdx=0 rIdx=0 oIdx=0 buffer=0 iui=0
v_mfma_f64_16x16x4_f64 a[40+0:47+0], v[vgprValuB_X3_I0+0+0+0:vgprValuB_X3_I0+0+0+0+1], v[vgprValuA_X2_I0+20+2+0:vgprValuA_X2_I0+20+2+0+1], a[40:47]
/*  mfmaIndex:54  */
_ds_load_b128 v[vgprValuA_X0_I0+4:vgprValuA_X0_I0+4+3], v[vgprLocalReadAddrA] offset:2560 // L -> Reg lro=0 swapByteOffset=0 ti=16 vIdx=1 rIdx=0 oIdx=0 buffer=0 iui=0
v_mfma_f64_16x16x4_f64 a[48+0:55+0], v[vgprValuB_X3_I0+0+0+0:vgprValuB_X3_I0+0+0+0+1], v[vgprValuA_X2_I0+24+2+0:vgprValuA_X2_I0+24+2+0+1], a[48:55]
/*  mfmaIndex:55  */
_ds_load_b128 v[vgprValuA_X0_I0+8:vgprValuA_X0_I0+8+3], v[vgprLocalReadAddrA] offset:5120 // L -> Reg lro=0 swapByteOffset=0 ti=16 vIdx=2 rIdx=0 oIdx=0 buffer=0 iui=0
	;; [unrolled: 3-line block ×7, first 2 shown]
v_mfma_f64_16x16x4_f64 a[88+0:95+0], v[vgprValuB_X3_I0+2+0+0:vgprValuB_X3_I0+2+0+0+1], v[vgprValuA_X2_I0+12+2+0:vgprValuA_X2_I0+12+2+0+1], a[88:95]
/*  mfmaIndex:61  */
_ds_load_b64 v[vgprValuB_X0_I0+2:vgprValuB_X0_I0+2+1], v[vgprLocalReadAddrB] offset:512 // L -> Reg lro=0 swapByteOffset=0 ti=64 vIdx=1 rIdx=0 oIdx=0 buffer=0 iui=0
v_mfma_f64_16x16x4_f64 a[80+0:87+0], v[vgprValuB_X3_I0+2+0+0:vgprValuB_X3_I0+2+0+0+1], v[vgprValuA_X2_I0+8+2+0:vgprValuA_X2_I0+8+2+0+1], a[80:87]
/*  mfmaIndex:62  */
v_mfma_f64_16x16x4_f64 a[72+0:79+0], v[vgprValuB_X3_I0+2+0+0:vgprValuB_X3_I0+2+0+0+1], v[vgprValuA_X2_I0+4+2+0:vgprValuA_X2_I0+4+2+0+1], a[72:79]
/*  mfmaIndex:63  */
v_mfma_f64_16x16x4_f64 a[64+0:71+0], v[vgprValuB_X3_I0+2+0+0:vgprValuB_X3_I0+2+0+0+1], v[vgprValuA_X2_I0+0+2+0:vgprValuA_X2_I0+0+2+0+1], a[64:71]
s_setprio 0                                        // store optimization

label_0014:


/******************************************/
/* Opt. NoLoadLoop Without PAP - Begin                                      */
/******************************************/

s_mov_b32 s32, s[sgprBeta+0]                       // tmp = Beta[0]
s_or_b32 s32, s[sgprBeta+1], s32                   // tmp |= Beta[1] 
s_cmpk_eq_u32 s32, 0x0                             // Beta == 0
s_cbranch_scc0 OptNLL_End_17                       // Branch if Beta is not zero

s_mov_b32 s32, 0                                   // Low part of double 1.0
s_mov_b32 s33, 0x3ff00000                          // High part of double 1.0
s_cmp_eq_u64 s[sgprAlpha:sgprAlpha+1], s[32:33]    // Alpha == 1.0 ?
s_cbranch_scc0 OptNLL_End_17                       // branch if alpha != 1

s_and_b32 s32, 127, s[sgprSizeI]                   // s32 = s[sgprSizeI] % 128
s_add_u32 s33, -0x1, s[sgprNumWorkGroups0]         // 
s_cmp_ge_u32 s[sgprWorkGroup0], s33                // wg0 >= nwg0-1 ?
s_cselect_b32 s32, s32, 0                          // set rMT0
s_cmpk_gt_u32 s32, 0x0                             // rMT0 > 0
s_cbranch_scc1 OptNLL_End_17                       // jump if edges required
s_and_b32 s32, 127, s[sgprSizeJ]                   // s32 = s[sgprSizeJ] % 128
s_add_u32 s33, -0x1, s[sgprNumWorkGroups1]         // 
s_cmp_ge_u32 s[sgprWorkGroup1], s33                // wg1 >= nwg1-1
s_cselect_b32 s32, s32, 0                          // set rMT1
s_cmpk_gt_u32 s32, 0x0                             // rMT1 > 0
s_cbranch_scc1 OptNLL_End_17                       // jump if edges required

s_and_b32 s33, 15, s[sgprSizesSum+0]               // s33 = s[sgprSizesSum+0] % 16
s_cmp_eq_u32 s33, 0x0                              // numIterL == 0
s_cbranch_scc0 OptNLL_End_17                       // skip if tail loop required


	;; [unrolled: 1-line block ×3, first 2 shown]
/* iter 0 (last unrolled loop) */

/*  grEndMfmaIndex:0, lwStartMfmaIndex:49, lwEndMfmaIndex:49  */
/*  numMfmaForLR:12, barrierMfmaIndex:51, LocalWritePerMfma:0.215 */
/*  mfmaIndex:0  */
s_waitcnt lgkmcnt(0)                               // lgkmcnt=0 vmcnt=-1wait for prior local read local write old=0, new=0 newLW=0 newLR=0
v_mfma_f64_16x16x4_f64 a[0+0:7+0], v[vgprValuB_X0_I0+0+0+0:vgprValuB_X0_I0+0+0+0+1], v[vgprValuA_X0_I0+0+0+0:vgprValuA_X0_I0+0+0+0+1], a[0:7]
/*  mfmaIndex:1  */
_ds_load_b128 v[vgprValuA_X2_I0+0:vgprValuA_X2_I0+0+3], v[vgprLocalReadAddrA] offset:64 // L -> Reg lro=8 swapByteOffset=0 ti=16 vIdx=0 rIdx=0 oIdx=0 buffer=2 iui=0
v_mfma_f64_16x16x4_f64 a[8+0:15+0], v[vgprValuB_X0_I0+0+0+0:vgprValuB_X0_I0+0+0+0+1], v[vgprValuA_X0_I0+4+0+0:vgprValuA_X0_I0+4+0+0+1], a[8:15]
/*  mfmaIndex:2  */
_ds_load_b64 v[vgprValuB_X1_I0+0:vgprValuB_X1_I0+0+1], v[vgprLocalReadAddrB] offset:1024 // L -> Reg lro=128 swapByteOffset=0 ti=64 vIdx=0 rIdx=0 oIdx=0 buffer=1 iui=0
v_mfma_f64_16x16x4_f64 a[16+0:23+0], v[vgprValuB_X0_I0+0+0+0:vgprValuB_X0_I0+0+0+0+1], v[vgprValuA_X0_I0+8+0+0:vgprValuA_X0_I0+8+0+0+1], a[16:23]
/*  mfmaIndex:3  */
_ds_load_b128 v[vgprValuA_X2_I0+4:vgprValuA_X2_I0+4+3], v[vgprLocalReadAddrA] offset:2624 // L -> Reg lro=8 swapByteOffset=0 ti=16 vIdx=1 rIdx=0 oIdx=0 buffer=2 iui=0
v_mfma_f64_16x16x4_f64 a[24+0:31+0], v[vgprValuB_X0_I0+0+0+0:vgprValuB_X0_I0+0+0+0+1], v[vgprValuA_X0_I0+12+0+0:vgprValuA_X0_I0+12+0+0+1], a[24:31]
/*  mfmaIndex:4  */
_ds_load_b128 v[vgprValuA_X2_I0+8:vgprValuA_X2_I0+8+3], v[vgprLocalReadAddrA] offset:5184 // L -> Reg lro=8 swapByteOffset=0 ti=16 vIdx=2 rIdx=0 oIdx=0 buffer=2 iui=0
	;; [unrolled: 3-line block ×7, first 2 shown]
v_mfma_f64_16x16x4_f64 a[112+0:119+0], v[vgprValuB_X0_I0+2+0+0:vgprValuB_X0_I0+2+0+0+1], v[vgprValuA_X0_I0+24+0+0:vgprValuA_X0_I0+24+0+0+1], a[112:119]
/*  mfmaIndex:10  */
_ds_load_b64 v[vgprValuB_X1_I0+2:vgprValuB_X1_I0+2+1], v[vgprLocalReadAddrB] offset:1536 // L -> Reg lro=128 swapByteOffset=0 ti=64 vIdx=1 rIdx=0 oIdx=0 buffer=1 iui=0
/* localReadsVacancy: latencyLeft 3 */
_ds_load_b64 v[vgprValuB_X2_I0+0:vgprValuB_X2_I0+0+1], v[vgprLocalReadAddrB] offset:8192 // L -> Reg lro=1024 swapByteOffset=0 ti=64 vIdx=0 rIdx=0 oIdx=0 buffer=2 iui=0
v_mfma_f64_16x16x4_f64 a[104+0:111+0], v[vgprValuB_X0_I0+2+0+0:vgprValuB_X0_I0+2+0+0+1], v[vgprValuA_X0_I0+20+0+0:vgprValuA_X0_I0+20+0+0+1], a[104:111]
/*  mfmaIndex:11  */
/* localReadsVacancy: latencyLeft 5 */
_ds_load_b64 v[vgprValuB_X2_I0+2:vgprValuB_X2_I0+2+1], v[vgprLocalReadAddrB] offset:8704 // L -> Reg lro=1024 swapByteOffset=0 ti=64 vIdx=1 rIdx=0 oIdx=0 buffer=2 iui=0
_ds_load_b64 v[vgprValuB_X3_I0+0:vgprValuB_X3_I0+0+1], v[vgprLocalReadAddrB] offset:9216 // L -> Reg lro=1152 swapByteOffset=0 ti=64 vIdx=0 rIdx=0 oIdx=0 buffer=3 iui=0
v_mfma_f64_16x16x4_f64 a[96+0:103+0], v[vgprValuB_X0_I0+2+0+0:vgprValuB_X0_I0+2+0+0+1], v[vgprValuA_X0_I0+16+0+0:vgprValuA_X0_I0+16+0+0+1], a[96:103]
/*  mfmaIndex:12  */
/* localReadsVacancy: latencyLeft 5 */
_ds_load_b64 v[vgprValuB_X3_I0+2:vgprValuB_X3_I0+2+1], v[vgprLocalReadAddrB] offset:9728 // L -> Reg lro=1152 swapByteOffset=0 ti=64 vIdx=1 rIdx=0 oIdx=0 buffer=3 iui=0
v_mfma_f64_16x16x4_f64 a[88+0:95+0], v[vgprValuB_X0_I0+2+0+0:vgprValuB_X0_I0+2+0+0+1], v[vgprValuA_X0_I0+12+0+0:vgprValuA_X0_I0+12+0+0+1], a[88:95]
/*  mfmaIndex:13  */
/* localReadsVacancy: latencyLeft 5 */
v_mfma_f64_16x16x4_f64 a[80+0:87+0], v[vgprValuB_X0_I0+2+0+0:vgprValuB_X0_I0+2+0+0+1], v[vgprValuA_X0_I0+8+0+0:vgprValuA_X0_I0+8+0+0+1], a[80:87]
/*  mfmaIndex:14  */
/* localReadsVacancy: latencyLeft 5 */
	;; [unrolled: 3-line block ×3, first 2 shown]
v_mfma_f64_16x16x4_f64 a[64+0:71+0], v[vgprValuB_X0_I0+2+0+0:vgprValuB_X0_I0+2+0+0+1], v[vgprValuA_X0_I0+0+0+0:vgprValuA_X0_I0+0+0+0+1], a[64:71]
/* numPrefetchIter=0 */
/* dataAtIterA=-1 numReadsIterA=1 skipReadsIterA=1 readsPerIterA=8 */
/* dataAtIterB=-1 numReadsIterB=1 skipReadsIterB=1 readsPerIterB=2 */


/* iter 1 (last unrolled loop) */

/*  grEndMfmaIndex:0, lwStartMfmaIndex:49, lwEndMfmaIndex:49  */
/*  numMfmaForLR:12, barrierMfmaIndex:51, LocalWritePerMfma:0.215 */
/*  mfmaIndex:16  */
/* localReadsVacancy: latencyLeft 5 */
s_waitcnt lgkmcnt(4)                               // lgkmcnt=0 vmcnt=-1wait for prior local read local write old=2, new=2 newLW=0 newLR=0
v_mfma_f64_16x16x4_f64 a[0+0:7+0], v[vgprValuB_X1_I0+0+0+0:vgprValuB_X1_I0+0+0+0+1], v[vgprValuA_X0_I0+0+2+0:vgprValuA_X0_I0+0+2+0+1], a[0:7]
/*  mfmaIndex:17  */
/* localReadsVacancy: latencyLeft 5 */
v_mfma_f64_16x16x4_f64 a[8+0:15+0], v[vgprValuB_X1_I0+0+0+0:vgprValuB_X1_I0+0+0+0+1], v[vgprValuA_X0_I0+4+2+0:vgprValuA_X0_I0+4+2+0+1], a[8:15]
/*  mfmaIndex:18  */
/* localReadsVacancy: latencyLeft 5 */
	;; [unrolled: 3-line block ×15, first 2 shown]
v_mfma_f64_16x16x4_f64 a[64+0:71+0], v[vgprValuB_X1_I0+2+0+0:vgprValuB_X1_I0+2+0+0+1], v[vgprValuA_X0_I0+0+2+0:vgprValuA_X0_I0+0+2+0+1], a[64:71]
/* numPrefetchIter=0 */
/* dataAtIterA=-1 numReadsIterA=1 skipReadsIterA=0 readsPerIterA=8 */
/* dataAtIterB=0 numReadsIterB=2 skipReadsIterB=1 readsPerIterB=2 */


/* iter 2 (last unrolled loop) */

/*  grEndMfmaIndex:0, lwStartMfmaIndex:49, lwEndMfmaIndex:49  */
/*  numMfmaForLR:12, barrierMfmaIndex:51, LocalWritePerMfma:0.215 */
/*  mfmaIndex:32  */
/* localReadsVacancy: latencyLeft 5 */
s_waitcnt lgkmcnt(0)                               // lgkmcnt=0 vmcnt=-1wait for prior local read local write old=0, new=0 newLW=0 newLR=0
v_mfma_f64_16x16x4_f64 a[0+0:7+0], v[vgprValuB_X2_I0+0+0+0:vgprValuB_X2_I0+0+0+0+1], v[vgprValuA_X2_I0+0+0+0:vgprValuA_X2_I0+0+0+0+1], a[0:7]
/*  mfmaIndex:33  */
/* localReadsVacancy: latencyLeft 5 */
v_mfma_f64_16x16x4_f64 a[8+0:15+0], v[vgprValuB_X2_I0+0+0+0:vgprValuB_X2_I0+0+0+0+1], v[vgprValuA_X2_I0+4+0+0:vgprValuA_X2_I0+4+0+0+1], a[8:15]
/*  mfmaIndex:34  */
/* localReadsVacancy: latencyLeft 5 */
	;; [unrolled: 3-line block ×15, first 2 shown]
v_mfma_f64_16x16x4_f64 a[64+0:71+0], v[vgprValuB_X2_I0+2+0+0:vgprValuB_X2_I0+2+0+0+1], v[vgprValuA_X2_I0+0+0+0:vgprValuA_X2_I0+0+0+0+1], a[64:71]
/* numPrefetchIter=0 */
/* dataAtIterA=0 numReadsIterA=1 skipReadsIterA=0 readsPerIterA=8 */
/* dataAtIterB=1 numReadsIterB=3 skipReadsIterB=1 readsPerIterB=2 */


/* iter 3 (last unrolled loop) */

/*  grEndMfmaIndex:0, lwStartMfmaIndex:49, lwEndMfmaIndex:49  */
/*  numMfmaForLR:12, barrierMfmaIndex:51, LocalWritePerMfma:0.215 */
/*  mfmaIndex:48  */
/* 1 LDS buffer: read-sync-write */
s_waitcnt lgkmcnt(0)                               // 
s_barrier                                          // 
s_waitcnt lgkmcnt(0)                               // lgkmcnt=0 vmcnt=-1wait for prior local read local write old=0, new=0 newLW=0 newLR=0
v_mfma_f64_16x16x4_f64 a[0+0:7+0], v[vgprValuB_X3_I0+0+0+0:vgprValuB_X3_I0+0+0+0+1], v[vgprValuA_X2_I0+0+2+0:vgprValuA_X2_I0+0+2+0+1], a[0:7]
/*  mfmaIndex:49  */
s_setprio 3                                        // store optimization
v_mfma_f64_16x16x4_f64 a[8+0:15+0], v[vgprValuB_X3_I0+0+0+0:vgprValuB_X3_I0+0+0+0+1], v[vgprValuA_X2_I0+4+2+0:vgprValuA_X2_I0+4+2+0+1], a[8:15]
/*  mfmaIndex:50  */
v_mfma_f64_16x16x4_f64 a[16+0:23+0], v[vgprValuB_X3_I0+0+0+0:vgprValuB_X3_I0+0+0+0+1], v[vgprValuA_X2_I0+8+2+0:vgprValuA_X2_I0+8+2+0+1], a[16:23]
s_setprio 0                                        // store optimization
/*  mfmaIndex:51  */
v_mfma_f64_16x16x4_f64 a[24+0:31+0], v[vgprValuB_X3_I0+0+0+0:vgprValuB_X3_I0+0+0+0+1], v[vgprValuA_X2_I0+12+2+0:vgprValuA_X2_I0+12+2+0+1], a[24:31]
/*  mfmaIndex:52  */
s_setprio 3                                        // store optimization
v_mfma_f64_16x16x4_f64 a[32+0:39+0], v[vgprValuB_X3_I0+0+0+0:vgprValuB_X3_I0+0+0+0+1], v[vgprValuA_X2_I0+16+2+0:vgprValuA_X2_I0+16+2+0+1], a[32:39]
/*  mfmaIndex:53  */
v_mfma_f64_16x16x4_f64 a[40+0:47+0], v[vgprValuB_X3_I0+0+0+0:vgprValuB_X3_I0+0+0+0+1], v[vgprValuA_X2_I0+20+2+0:vgprValuA_X2_I0+20+2+0+1], a[40:47]
/*  mfmaIndex:54  */
v_mfma_f64_16x16x4_f64 a[48+0:55+0], v[vgprValuB_X3_I0+0+0+0:vgprValuB_X3_I0+0+0+0+1], v[vgprValuA_X2_I0+24+2+0:vgprValuA_X2_I0+24+2+0+1], a[48:55]
/*  mfmaIndex:55  */
v_mfma_f64_16x16x4_f64 a[56+0:63+0], v[vgprValuB_X3_I0+0+0+0:vgprValuB_X3_I0+0+0+0+1], v[vgprValuA_X2_I0+28+2+0:vgprValuA_X2_I0+28+2+0+1], a[56:63]
/*  mfmaIndex:56  */
v_mfma_f64_16x16x4_f64 a[120+0:127+0], v[vgprValuB_X3_I0+2+0+0:vgprValuB_X3_I0+2+0+0+1], v[vgprValuA_X2_I0+28+2+0:vgprValuA_X2_I0+28+2+0+1], a[120:127]
/*  mfmaIndex:57  */
v_mfma_f64_16x16x4_f64 a[112+0:119+0], v[vgprValuB_X3_I0+2+0+0:vgprValuB_X3_I0+2+0+0+1], v[vgprValuA_X2_I0+24+2+0:vgprValuA_X2_I0+24+2+0+1], a[112:119]
/*  mfmaIndex:58  */
v_mfma_f64_16x16x4_f64 a[104+0:111+0], v[vgprValuB_X3_I0+2+0+0:vgprValuB_X3_I0+2+0+0+1], v[vgprValuA_X2_I0+20+2+0:vgprValuA_X2_I0+20+2+0+1], a[104:111]
/*  mfmaIndex:59  */
v_mfma_f64_16x16x4_f64 a[96+0:103+0], v[vgprValuB_X3_I0+2+0+0:vgprValuB_X3_I0+2+0+0+1], v[vgprValuA_X2_I0+16+2+0:vgprValuA_X2_I0+16+2+0+1], a[96:103]
/*  mfmaIndex:60  */
v_mfma_f64_16x16x4_f64 a[88+0:95+0], v[vgprValuB_X3_I0+2+0+0:vgprValuB_X3_I0+2+0+0+1], v[vgprValuA_X2_I0+12+2+0:vgprValuA_X2_I0+12+2+0+1], a[88:95]
/*  mfmaIndex:61  */
v_mfma_f64_16x16x4_f64 a[80+0:87+0], v[vgprValuB_X3_I0+2+0+0:vgprValuB_X3_I0+2+0+0+1], v[vgprValuA_X2_I0+8+2+0:vgprValuA_X2_I0+8+2+0+1], a[80:87]
/*  mfmaIndex:62  */
v_mfma_f64_16x16x4_f64 a[72+0:79+0], v[vgprValuB_X3_I0+2+0+0:vgprValuB_X3_I0+2+0+0+1], v[vgprValuA_X2_I0+4+2+0:vgprValuA_X2_I0+4+2+0+1], a[72:79]
/*  mfmaIndex:63  */
v_mfma_f64_16x16x4_f64 a[64+0:71+0], v[vgprValuB_X3_I0+2+0+0:vgprValuB_X3_I0+2+0+0+1], v[vgprValuA_X2_I0+0+2+0:vgprValuA_X2_I0+0+2+0+1], a[64:71]
/* numPrefetchIter=0 */
/* dataAtIterA=0 numReadsIterA=1 skipReadsIterA=0 readsPerIterA=8 */
/* dataAtIterB=2 numReadsIterB=3 skipReadsIterB=0 readsPerIterB=2 */

/* Stores for OptNLL */
Summation_End_OptNLL_18:
s_setprio 0                                        // optimization store
/* endSummation: add vgpr [0...122) to pool */
.set NumFullBlocks, UNDEF
.set WgmRemainder1, UNDEF
.set MagicNumberWgmRemainder1, UNDEF

/* Mapping of Acc register -> C Vgpr register */
/* computeStoreVgprs */
v_lshrrev_b32 v4, 6, v[vgprSerial]                 // v4 = v[vgprSerial] / 64
v_and_b32 v1, 63, v[vgprSerial]                    // v1 = v[vgprSerial] % 64
v_lshrrev_b32 v1, 4, v1                            // v1 = v1 / 16
                                                   // thread0 * continuous_output (multiplier is 1, do nothing)
v_lshrrev_b32 v5, 0, v4                            // v5 = v4 / 1
v_mul_lo_u32 v5, 0x10, v5                          // wave coordination offset 1
_v_add_lshl_u32 v1, v5, v1, 0                      // coordination 1 = vwb *(wave_id1 + tid1)
v_mul_lo_u32 v2, v1, s[sgprStrideC1J]              //  offset 1
v_mul_lo_u32 v3, v1, s[sgprStrideD1J]              //  offset 1
v_and_b32 v5, 0, v4                                // v5 = v4 % 1
v_and_b32 v0, 15, v[vgprSerial]                    // v0 = v[vgprSerial] % 16
_v_add_lshl_u32 v0, v5, v0, 0                      // coordination 0 = vwa *(wave_id0 + tid0)
s_mul_i32 s31, 128, s[sgprWorkGroup0]              // wgp0 * MT0
_v_add_u32 v0, s31, v0                             // coord 0 = (tid0/MI_m)*4 + waveG0*MIB_m + MT0*SG0
s_mul_i32 s31, 128, s[sgprWorkGroup1]              // wgp1 * MT1
_v_add_u32 v1, s31, v1                             // coord 1 = (tid0%MI_m) + waveG1*MIB_n + MT1*SG1
GW_B0_E0_21:

/* edge=0, allocate 2 sgpr. perBatchTmpS=2 perBatchMaskS=0 perElementMaskS=0 elementsPerBatch=122 */
/* optSingleColVgpr=1 optSharedColVgpr=0 optSGPRUsage=BufferLoad_Mask optSrdIncForRow=1 */
s_sleep 7 // optimization: sync and wait
s_barrier

/******************************************/
/* Global Write Batch #0 (d1,d0,vc1,vc0) = */
/*    (0,0,0,0:vw1); (0,1,0,0:vw1); (0,2,0,0:vw1); (0,3,0,0:vw1); (0,4,0,0:vw1); (0,5,0,0:vw1); (0,6,0,0:vw1); (0,7,0,0:vw1); (1,0,0,0:vw1); (1,1,0,0:vw1); (1,2,0,0:vw1); (1,3,0,0:vw1); (1,4,0,0:vw1); (1,5,0,0:vw1); (1,6,0,0:vw1); (1,7,0,0:vw1); (2,0,0,0:vw1); (2,1,0,0:vw1); (2,2,0,0:vw1); (2,3,0,0:vw1); (2,4,0,0:vw1); (2,5,0,0:vw1); (2,6,0,0:vw1); (2,7,0,0:vw1); (3,0,0,0:vw1); (3,1,0,0:vw1); (3,2,0,0:vw1); (3,3,0,0:vw1); (3,4,0,0:vw1); (3,5,0,0:vw1); (3,6,0,0:vw1); (3,7,0,0:vw1); (4,0,0,0:vw1); (4,1,0,0:vw1); (4,2,0,0:vw1); (4,3,0,0:vw1); (4,4,0,0:vw1); (4,5,0,0:vw1); (4,6,0,0:vw1); (4,7,0,0:vw1); (5,0,0,0:vw1); (5,1,0,0:vw1); (5,2,0,0:vw1); (5,3,0,0:vw1); (5,4,0,0:vw1); (5,5,0,0:vw1); (5,6,0,0:vw1); (5,7,0,0:vw1); (6,0,0,0:vw1); (6,1,0,0:vw1); (6,2,0,0:vw1); (6,3,0,0:vw1); (6,4,0,0:vw1); (6,5,0,0:vw1); (6,6,0,0:vw1); (6,7,0,0:vw1); (7,0,0,0:vw1); (7,1,0,0:vw1); (7,2,0,0:vw1); (7,3,0,0:vw1); (7,4,0,0:vw1); (7,5,0,0:vw1); (7,6,0,0:vw1); (7,7,0,0:vw1) */
/******************************************/

/* calc coords, apply mask, and issue loads (if necessary) */
/* (d1,vc1,d0,vc0)=(0,0,0,0) */
/* (d1,vc1,d0,vc0)=(0,0,1,0) */
	;; [unrolled: 1-line block ×64, first 2 shown]
_v_add_lshl_u32 v6, v3, v0, 0x3                    // optSingleColVgpr scaleToBpe: sharedAddrVgpr <- cinRowPtr + coord0, scaled by BPE. BSHERE:coord0=0, coord0Vgpr=0
v_accvgpr_read_b32 v[vgprValuC+8], acc0 // copy acc to vreg[0]
v_accvgpr_read_b32 v[vgprValuC+9], acc1 // copy acc to vreg[1]
v_accvgpr_read_b32 v[vgprValuC+10], acc8 // copy acc to vreg[2]
v_accvgpr_read_b32 v[vgprValuC+11], acc9 // copy acc to vreg[3]
v_accvgpr_read_b32 v[vgprValuC+12], acc16 // copy acc to vreg[4]
v_accvgpr_read_b32 v[vgprValuC+13], acc17 // copy acc to vreg[5]
v_accvgpr_read_b32 v[vgprValuC+14], acc24 // copy acc to vreg[6]
v_accvgpr_read_b32 v[vgprValuC+15], acc25 // copy acc to vreg[7]
v_accvgpr_read_b32 v[vgprValuC+16], acc32 // copy acc to vreg[8]
v_accvgpr_read_b32 v[vgprValuC+17], acc33 // copy acc to vreg[9]
v_accvgpr_read_b32 v[vgprValuC+18], acc40 // copy acc to vreg[10]
v_accvgpr_read_b32 v[vgprValuC+19], acc41 // copy acc to vreg[11]
v_accvgpr_read_b32 v[vgprValuC+20], acc48 // copy acc to vreg[12]
v_accvgpr_read_b32 v[vgprValuC+21], acc49 // copy acc to vreg[13]
v_accvgpr_read_b32 v[vgprValuC+22], acc56 // copy acc to vreg[14]
v_accvgpr_read_b32 v[vgprValuC+23], acc57 // copy acc to vreg[15]
v_accvgpr_read_b32 v[vgprValuC+24], acc2 // copy acc to vreg[16]
v_accvgpr_read_b32 v[vgprValuC+25], acc3 // copy acc to vreg[17]
v_accvgpr_read_b32 v[vgprValuC+26], acc10 // copy acc to vreg[18]
v_accvgpr_read_b32 v[vgprValuC+27], acc11 // copy acc to vreg[19]
v_accvgpr_read_b32 v[vgprValuC+28], acc18 // copy acc to vreg[20]
v_accvgpr_read_b32 v[vgprValuC+29], acc19 // copy acc to vreg[21]
v_accvgpr_read_b32 v[vgprValuC+30], acc26 // copy acc to vreg[22]
v_accvgpr_read_b32 v[vgprValuC+31], acc27 // copy acc to vreg[23]
v_accvgpr_read_b32 v[vgprValuC+32], acc34 // copy acc to vreg[24]
v_accvgpr_read_b32 v[vgprValuC+33], acc35 // copy acc to vreg[25]
v_accvgpr_read_b32 v[vgprValuC+34], acc42 // copy acc to vreg[26]
v_accvgpr_read_b32 v[vgprValuC+35], acc43 // copy acc to vreg[27]
v_accvgpr_read_b32 v[vgprValuC+36], acc50 // copy acc to vreg[28]
v_accvgpr_read_b32 v[vgprValuC+37], acc51 // copy acc to vreg[29]
v_accvgpr_read_b32 v[vgprValuC+38], acc58 // copy acc to vreg[30]
v_accvgpr_read_b32 v[vgprValuC+39], acc59 // copy acc to vreg[31]
v_accvgpr_read_b32 v[vgprValuC+40], acc4 // copy acc to vreg[32]
v_accvgpr_read_b32 v[vgprValuC+41], acc5 // copy acc to vreg[33]
v_accvgpr_read_b32 v[vgprValuC+42], acc12 // copy acc to vreg[34]
v_accvgpr_read_b32 v[vgprValuC+43], acc13 // copy acc to vreg[35]
v_accvgpr_read_b32 v[vgprValuC+44], acc20 // copy acc to vreg[36]
v_accvgpr_read_b32 v[vgprValuC+45], acc21 // copy acc to vreg[37]
v_accvgpr_read_b32 v[vgprValuC+46], acc28 // copy acc to vreg[38]
v_accvgpr_read_b32 v[vgprValuC+47], acc29 // copy acc to vreg[39]
v_accvgpr_read_b32 v[vgprValuC+48], acc36 // copy acc to vreg[40]
v_accvgpr_read_b32 v[vgprValuC+49], acc37 // copy acc to vreg[41]
v_accvgpr_read_b32 v[vgprValuC+50], acc44 // copy acc to vreg[42]
v_accvgpr_read_b32 v[vgprValuC+51], acc45 // copy acc to vreg[43]
v_accvgpr_read_b32 v[vgprValuC+52], acc52 // copy acc to vreg[44]
v_accvgpr_read_b32 v[vgprValuC+53], acc53 // copy acc to vreg[45]
v_accvgpr_read_b32 v[vgprValuC+54], acc60 // copy acc to vreg[46]
v_accvgpr_read_b32 v[vgprValuC+55], acc61 // copy acc to vreg[47]
v_accvgpr_read_b32 v[vgprValuC+56], acc6 // copy acc to vreg[48]
v_accvgpr_read_b32 v[vgprValuC+57], acc7 // copy acc to vreg[49]
v_accvgpr_read_b32 v[vgprValuC+58], acc14 // copy acc to vreg[50]
v_accvgpr_read_b32 v[vgprValuC+59], acc15 // copy acc to vreg[51]
v_accvgpr_read_b32 v[vgprValuC+60], acc22 // copy acc to vreg[52]
v_accvgpr_read_b32 v[vgprValuC+61], acc23 // copy acc to vreg[53]
v_accvgpr_read_b32 v[vgprValuC+62], acc30 // copy acc to vreg[54]
v_accvgpr_read_b32 v[vgprValuC+63], acc31 // copy acc to vreg[55]
v_accvgpr_read_b32 v[vgprValuC+64], acc38 // copy acc to vreg[56]
v_accvgpr_read_b32 v[vgprValuC+65], acc39 // copy acc to vreg[57]
v_accvgpr_read_b32 v[vgprValuC+66], acc46 // copy acc to vreg[58]
v_accvgpr_read_b32 v[vgprValuC+67], acc47 // copy acc to vreg[59]
v_accvgpr_read_b32 v[vgprValuC+68], acc54 // copy acc to vreg[60]
v_accvgpr_read_b32 v[vgprValuC+69], acc55 // copy acc to vreg[61]
v_accvgpr_read_b32 v[vgprValuC+70], acc62 // copy acc to vreg[62]
v_accvgpr_read_b32 v[vgprValuC+71], acc63 // copy acc to vreg[63]
v_accvgpr_read_b32 v[vgprValuC+72], acc64 // copy acc to vreg[64]
v_accvgpr_read_b32 v[vgprValuC+73], acc65 // copy acc to vreg[65]
v_accvgpr_read_b32 v[vgprValuC+74], acc72 // copy acc to vreg[66]
v_accvgpr_read_b32 v[vgprValuC+75], acc73 // copy acc to vreg[67]
v_accvgpr_read_b32 v[vgprValuC+76], acc80 // copy acc to vreg[68]
v_accvgpr_read_b32 v[vgprValuC+77], acc81 // copy acc to vreg[69]
v_accvgpr_read_b32 v[vgprValuC+78], acc88 // copy acc to vreg[70]
v_accvgpr_read_b32 v[vgprValuC+79], acc89 // copy acc to vreg[71]
v_accvgpr_read_b32 v[vgprValuC+80], acc96 // copy acc to vreg[72]
v_accvgpr_read_b32 v[vgprValuC+81], acc97 // copy acc to vreg[73]
v_accvgpr_read_b32 v[vgprValuC+82], acc104 // copy acc to vreg[74]
v_accvgpr_read_b32 v[vgprValuC+83], acc105 // copy acc to vreg[75]
v_accvgpr_read_b32 v[vgprValuC+84], acc112 // copy acc to vreg[76]
v_accvgpr_read_b32 v[vgprValuC+85], acc113 // copy acc to vreg[77]
v_accvgpr_read_b32 v[vgprValuC+86], acc120 // copy acc to vreg[78]
v_accvgpr_read_b32 v[vgprValuC+87], acc121 // copy acc to vreg[79]
v_accvgpr_read_b32 v[vgprValuC+88], acc66 // copy acc to vreg[80]
v_accvgpr_read_b32 v[vgprValuC+89], acc67 // copy acc to vreg[81]
v_accvgpr_read_b32 v[vgprValuC+90], acc74 // copy acc to vreg[82]
v_accvgpr_read_b32 v[vgprValuC+91], acc75 // copy acc to vreg[83]
v_accvgpr_read_b32 v[vgprValuC+92], acc82 // copy acc to vreg[84]
v_accvgpr_read_b32 v[vgprValuC+93], acc83 // copy acc to vreg[85]
v_accvgpr_read_b32 v[vgprValuC+94], acc90 // copy acc to vreg[86]
v_accvgpr_read_b32 v[vgprValuC+95], acc91 // copy acc to vreg[87]
v_accvgpr_read_b32 v[vgprValuC+96], acc98 // copy acc to vreg[88]
v_accvgpr_read_b32 v[vgprValuC+97], acc99 // copy acc to vreg[89]
v_accvgpr_read_b32 v[vgprValuC+98], acc106 // copy acc to vreg[90]
v_accvgpr_read_b32 v[vgprValuC+99], acc107 // copy acc to vreg[91]
v_accvgpr_read_b32 v[vgprValuC+100], acc114 // copy acc to vreg[92]
v_accvgpr_read_b32 v[vgprValuC+101], acc115 // copy acc to vreg[93]
v_accvgpr_read_b32 v[vgprValuC+102], acc122 // copy acc to vreg[94]
v_accvgpr_read_b32 v[vgprValuC+103], acc123 // copy acc to vreg[95]
v_accvgpr_read_b32 v[vgprValuC+104], acc68 // copy acc to vreg[96]
v_accvgpr_read_b32 v[vgprValuC+105], acc69 // copy acc to vreg[97]
v_accvgpr_read_b32 v[vgprValuC+106], acc76 // copy acc to vreg[98]
v_accvgpr_read_b32 v[vgprValuC+107], acc77 // copy acc to vreg[99]
v_accvgpr_read_b32 v[vgprValuC+108], acc84 // copy acc to vreg[100]
v_accvgpr_read_b32 v[vgprValuC+109], acc85 // copy acc to vreg[101]
v_accvgpr_read_b32 v[vgprValuC+110], acc92 // copy acc to vreg[102]
v_accvgpr_read_b32 v[vgprValuC+111], acc93 // copy acc to vreg[103]
v_accvgpr_read_b32 v[vgprValuC+112], acc100 // copy acc to vreg[104]
v_accvgpr_read_b32 v[vgprValuC+113], acc101 // copy acc to vreg[105]
v_accvgpr_read_b32 v[vgprValuC+114], acc108 // copy acc to vreg[106]
v_accvgpr_read_b32 v[vgprValuC+115], acc109 // copy acc to vreg[107]
v_accvgpr_read_b32 v[vgprValuC+116], acc116 // copy acc to vreg[108]
v_accvgpr_read_b32 v[vgprValuC+117], acc117 // copy acc to vreg[109]
v_accvgpr_read_b32 v[vgprValuC+118], acc124 // copy acc to vreg[110]
v_accvgpr_read_b32 v[vgprValuC+119], acc125 // copy acc to vreg[111]
v_accvgpr_read_b32 v[vgprValuC+120], acc70 // copy acc to vreg[112]
v_accvgpr_read_b32 v[vgprValuC+121], acc71 // copy acc to vreg[113]
v_accvgpr_read_b32 v[vgprValuC+126], acc78 // copy acc to vreg[114]
v_accvgpr_read_b32 v[vgprValuC+127], acc79 // copy acc to vreg[115]
v_accvgpr_read_b32 v[vgprValuC+128], acc86 // copy acc to vreg[116]
v_accvgpr_read_b32 v[vgprValuC+129], acc87 // copy acc to vreg[117]
v_accvgpr_read_b32 v[vgprValuC+130], acc94 // copy acc to vreg[118]
v_accvgpr_read_b32 v[vgprValuC+131], acc95 // copy acc to vreg[119]
v_accvgpr_read_b32 v[vgprValuC+132], acc102 // copy acc to vreg[120]
v_accvgpr_read_b32 v[vgprValuC+133], acc103 // copy acc to vreg[121]
v_accvgpr_read_b32 v[vgprValuC+134], acc110 // copy acc to vreg[122]
v_accvgpr_read_b32 v[vgprValuC+135], acc111 // copy acc to vreg[123]
v_accvgpr_read_b32 v[vgprValuC+136], acc118 // copy acc to vreg[124]
v_accvgpr_read_b32 v[vgprValuC+137], acc119 // copy acc to vreg[125]
v_accvgpr_read_b32 v[vgprValuC+138], acc126 // copy acc to vreg[126]
v_accvgpr_read_b32 v[vgprValuC+139], acc127 // copy acc to vreg[127]
s_nop 1                                            // 2 wait states required before reading vgpr

/* apply mask, calc new C and issue writes */
_buffer_store_b64 v[8:9], v6, s[sgprSrdD:sgprSrdD+3], 0, offen, offset:0,  sc0 sc1 // store D
_buffer_store_b64 v[10:11], v6, s[sgprSrdD:sgprSrdD+3], 0, offen, offset:128,  sc0 sc1 // store D
_buffer_store_b64 v[12:13], v6, s[sgprSrdD:sgprSrdD+3], 0, offen, offset:256,  sc0 sc1 // store D
_buffer_store_b64 v[14:15], v6, s[sgprSrdD:sgprSrdD+3], 0, offen, offset:384,  sc0 sc1 // store D
_buffer_store_b64 v[16:17], v6, s[sgprSrdD:sgprSrdD+3], 0, offen, offset:512,  sc0 sc1 // store D
_buffer_store_b64 v[18:19], v6, s[sgprSrdD:sgprSrdD+3], 0, offen, offset:640,  sc0 sc1 // store D
_buffer_store_b64 v[20:21], v6, s[sgprSrdD:sgprSrdD+3], 0, offen, offset:768,  sc0 sc1 // store D
_buffer_store_b64 v[22:23], v6, s[sgprSrdD:sgprSrdD+3], 0, offen, offset:896,  sc0 sc1 // store D
s_mul_i32 s32, s[sgprStrideD1J], 32                // scale StrideD *= numRows(4) * bpe
s_add_u32  s[sgprSrdD+0], s[sgprSrdD+0], s32       // incToNextRow: gra SRD += inc(lower)
s_addc_u32  s[sgprSrdD+1], s[sgprSrdD+1], 0        // incToNextRow: gra SRD += inc(upper)
_buffer_store_b64 v[24:25], v6, s[sgprSrdD:sgprSrdD+3], 0, offen, offset:0,  sc0 sc1 // store D
_buffer_store_b64 v[26:27], v6, s[sgprSrdD:sgprSrdD+3], 0, offen, offset:128,  sc0 sc1 // store D
_buffer_store_b64 v[28:29], v6, s[sgprSrdD:sgprSrdD+3], 0, offen, offset:256,  sc0 sc1 // store D
_buffer_store_b64 v[30:31], v6, s[sgprSrdD:sgprSrdD+3], 0, offen, offset:384,  sc0 sc1 // store D
_buffer_store_b64 v[32:33], v6, s[sgprSrdD:sgprSrdD+3], 0, offen, offset:512,  sc0 sc1 // store D
_buffer_store_b64 v[34:35], v6, s[sgprSrdD:sgprSrdD+3], 0, offen, offset:640,  sc0 sc1 // store D
_buffer_store_b64 v[36:37], v6, s[sgprSrdD:sgprSrdD+3], 0, offen, offset:768,  sc0 sc1 // store D
_buffer_store_b64 v[38:39], v6, s[sgprSrdD:sgprSrdD+3], 0, offen, offset:896,  sc0 sc1 // store D
s_mul_i32 s32, s[sgprStrideD1J], 32                // scale StrideD *= numRows(4) * bpe
s_add_u32  s[sgprSrdD+0], s[sgprSrdD+0], s32       // incToNextRow: gra SRD += inc(lower)
s_addc_u32  s[sgprSrdD+1], s[sgprSrdD+1], 0        // incToNextRow: gra SRD += inc(upper)
	;; [unrolled: 11-line block ×3, first 2 shown]
_buffer_store_b64 v[56:57], v6, s[sgprSrdD:sgprSrdD+3], 0, offen, offset:0,  sc0 sc1 // store D
_buffer_store_b64 v[58:59], v6, s[sgprSrdD:sgprSrdD+3], 0, offen, offset:128,  sc0 sc1 // store D
	;; [unrolled: 1-line block ×8, first 2 shown]
s_mul_i32 s32, s[sgprStrideD1J], 416               // scale StrideD *= numRows(52) * bpe
s_add_u32  s[sgprSrdD+0], s[sgprSrdD+0], s32       // incToNextRow: gra SRD += inc(lower)
s_addc_u32  s[sgprSrdD+1], s[sgprSrdD+1], 0        // incToNextRow: gra SRD += inc(upper)
_buffer_store_b64 v[72:73], v6, s[sgprSrdD:sgprSrdD+3], 0, offen, offset:0,  sc0 sc1 // store D
_buffer_store_b64 v[74:75], v6, s[sgprSrdD:sgprSrdD+3], 0, offen, offset:128,  sc0 sc1 // store D
_buffer_store_b64 v[76:77], v6, s[sgprSrdD:sgprSrdD+3], 0, offen, offset:256,  sc0 sc1 // store D
_buffer_store_b64 v[78:79], v6, s[sgprSrdD:sgprSrdD+3], 0, offen, offset:384,  sc0 sc1 // store D
_buffer_store_b64 v[80:81], v6, s[sgprSrdD:sgprSrdD+3], 0, offen, offset:512,  sc0 sc1 // store D
_buffer_store_b64 v[82:83], v6, s[sgprSrdD:sgprSrdD+3], 0, offen, offset:640,  sc0 sc1 // store D
_buffer_store_b64 v[84:85], v6, s[sgprSrdD:sgprSrdD+3], 0, offen, offset:768,  sc0 sc1 // store D
_buffer_store_b64 v[86:87], v6, s[sgprSrdD:sgprSrdD+3], 0, offen, offset:896,  sc0 sc1 // store D
s_mul_i32 s32, s[sgprStrideD1J], 32                // scale StrideD *= numRows(4) * bpe
s_add_u32  s[sgprSrdD+0], s[sgprSrdD+0], s32       // incToNextRow: gra SRD += inc(lower)
s_addc_u32  s[sgprSrdD+1], s[sgprSrdD+1], 0        // incToNextRow: gra SRD += inc(upper)
_buffer_store_b64 v[88:89], v6, s[sgprSrdD:sgprSrdD+3], 0, offen, offset:0,  sc0 sc1 // store D
_buffer_store_b64 v[90:91], v6, s[sgprSrdD:sgprSrdD+3], 0, offen, offset:128,  sc0 sc1 // store D
_buffer_store_b64 v[92:93], v6, s[sgprSrdD:sgprSrdD+3], 0, offen, offset:256,  sc0 sc1 // store D
_buffer_store_b64 v[94:95], v6, s[sgprSrdD:sgprSrdD+3], 0, offen, offset:384,  sc0 sc1 // store D
_buffer_store_b64 v[96:97], v6, s[sgprSrdD:sgprSrdD+3], 0, offen, offset:512,  sc0 sc1 // store D
_buffer_store_b64 v[98:99], v6, s[sgprSrdD:sgprSrdD+3], 0, offen, offset:640,  sc0 sc1 // store D
_buffer_store_b64 v[100:101], v6, s[sgprSrdD:sgprSrdD+3], 0, offen, offset:768,  sc0 sc1 // store D
_buffer_store_b64 v[102:103], v6, s[sgprSrdD:sgprSrdD+3], 0, offen, offset:896,  sc0 sc1 // store D
s_mul_i32 s32, s[sgprStrideD1J], 32                // scale StrideD *= numRows(4) * bpe
	;; [unrolled: 11-line block ×3, first 2 shown]
s_add_u32  s[sgprSrdD+0], s[sgprSrdD+0], s32       // incToNextRow: gra SRD += inc(lower)
s_addc_u32  s[sgprSrdD+1], s[sgprSrdD+1], 0        // incToNextRow: gra SRD += inc(upper)
_buffer_store_b64 v[120:121], v6, s[sgprSrdD:sgprSrdD+3], 0, offen, offset:0,  sc0 sc1 // store D
_buffer_store_b64 v[126:127], v6, s[sgprSrdD:sgprSrdD+3], 0, offen, offset:128,  sc0 sc1 // store D
	;; [unrolled: 1-line block ×8, first 2 shown]
s_nop 0                                            // 1 wait state required when next inst writes vgprs held by previous dwordx4 store inst
s_branch label_GW_End_23                           // jump to end
label_GW_End_23:

s_endpgm                                           // Kernel End
OptNLL_End_17:


/******************************************/
/* Ord. NoLoadLoop - Begin                                      */
/******************************************/


	;; [unrolled: 1-line block ×4, first 2 shown]
/* iter 0 (last unrolled loop) */

/*  grEndMfmaIndex:0, lwStartMfmaIndex:49, lwEndMfmaIndex:49  */
/*  numMfmaForLR:12, barrierMfmaIndex:51, LocalWritePerMfma:0.215 */
/*  mfmaIndex:0  */
s_waitcnt lgkmcnt(0)                               // lgkmcnt=0 vmcnt=-1wait for prior local read local write old=0, new=0 newLW=0 newLR=0
v_mfma_f64_16x16x4_f64 a[0+0:7+0], v[vgprValuB_X0_I0+0+0+0:vgprValuB_X0_I0+0+0+0+1], v[vgprValuA_X0_I0+0+0+0:vgprValuA_X0_I0+0+0+0+1], a[0:7]
/*  mfmaIndex:1  */
_ds_load_b128 v[vgprValuA_X2_I0+0:vgprValuA_X2_I0+0+3], v[vgprLocalReadAddrA] offset:64 // L -> Reg lro=8 swapByteOffset=0 ti=16 vIdx=0 rIdx=0 oIdx=0 buffer=2 iui=0
v_mfma_f64_16x16x4_f64 a[8+0:15+0], v[vgprValuB_X0_I0+0+0+0:vgprValuB_X0_I0+0+0+0+1], v[vgprValuA_X0_I0+4+0+0:vgprValuA_X0_I0+4+0+0+1], a[8:15]
/*  mfmaIndex:2  */
_ds_load_b64 v[vgprValuB_X1_I0+0:vgprValuB_X1_I0+0+1], v[vgprLocalReadAddrB] offset:1024 // L -> Reg lro=128 swapByteOffset=0 ti=64 vIdx=0 rIdx=0 oIdx=0 buffer=1 iui=0
v_mfma_f64_16x16x4_f64 a[16+0:23+0], v[vgprValuB_X0_I0+0+0+0:vgprValuB_X0_I0+0+0+0+1], v[vgprValuA_X0_I0+8+0+0:vgprValuA_X0_I0+8+0+0+1], a[16:23]
/*  mfmaIndex:3  */
_ds_load_b128 v[vgprValuA_X2_I0+4:vgprValuA_X2_I0+4+3], v[vgprLocalReadAddrA] offset:2624 // L -> Reg lro=8 swapByteOffset=0 ti=16 vIdx=1 rIdx=0 oIdx=0 buffer=2 iui=0
v_mfma_f64_16x16x4_f64 a[24+0:31+0], v[vgprValuB_X0_I0+0+0+0:vgprValuB_X0_I0+0+0+0+1], v[vgprValuA_X0_I0+12+0+0:vgprValuA_X0_I0+12+0+0+1], a[24:31]
/*  mfmaIndex:4  */
_ds_load_b128 v[vgprValuA_X2_I0+8:vgprValuA_X2_I0+8+3], v[vgprLocalReadAddrA] offset:5184 // L -> Reg lro=8 swapByteOffset=0 ti=16 vIdx=2 rIdx=0 oIdx=0 buffer=2 iui=0
	;; [unrolled: 3-line block ×7, first 2 shown]
v_mfma_f64_16x16x4_f64 a[112+0:119+0], v[vgprValuB_X0_I0+2+0+0:vgprValuB_X0_I0+2+0+0+1], v[vgprValuA_X0_I0+24+0+0:vgprValuA_X0_I0+24+0+0+1], a[112:119]
/*  mfmaIndex:10  */
_ds_load_b64 v[vgprValuB_X1_I0+2:vgprValuB_X1_I0+2+1], v[vgprLocalReadAddrB] offset:1536 // L -> Reg lro=128 swapByteOffset=0 ti=64 vIdx=1 rIdx=0 oIdx=0 buffer=1 iui=0
/* localReadsVacancy: latencyLeft 3 */
_ds_load_b64 v[vgprValuB_X2_I0+0:vgprValuB_X2_I0+0+1], v[vgprLocalReadAddrB] offset:8192 // L -> Reg lro=1024 swapByteOffset=0 ti=64 vIdx=0 rIdx=0 oIdx=0 buffer=2 iui=0
v_mfma_f64_16x16x4_f64 a[104+0:111+0], v[vgprValuB_X0_I0+2+0+0:vgprValuB_X0_I0+2+0+0+1], v[vgprValuA_X0_I0+20+0+0:vgprValuA_X0_I0+20+0+0+1], a[104:111]
/*  mfmaIndex:11  */
/* localReadsVacancy: latencyLeft 5 */
_ds_load_b64 v[vgprValuB_X2_I0+2:vgprValuB_X2_I0+2+1], v[vgprLocalReadAddrB] offset:8704 // L -> Reg lro=1024 swapByteOffset=0 ti=64 vIdx=1 rIdx=0 oIdx=0 buffer=2 iui=0
_ds_load_b64 v[vgprValuB_X3_I0+0:vgprValuB_X3_I0+0+1], v[vgprLocalReadAddrB] offset:9216 // L -> Reg lro=1152 swapByteOffset=0 ti=64 vIdx=0 rIdx=0 oIdx=0 buffer=3 iui=0
v_mfma_f64_16x16x4_f64 a[96+0:103+0], v[vgprValuB_X0_I0+2+0+0:vgprValuB_X0_I0+2+0+0+1], v[vgprValuA_X0_I0+16+0+0:vgprValuA_X0_I0+16+0+0+1], a[96:103]
/*  mfmaIndex:12  */
/* localReadsVacancy: latencyLeft 5 */
_ds_load_b64 v[vgprValuB_X3_I0+2:vgprValuB_X3_I0+2+1], v[vgprLocalReadAddrB] offset:9728 // L -> Reg lro=1152 swapByteOffset=0 ti=64 vIdx=1 rIdx=0 oIdx=0 buffer=3 iui=0
v_mfma_f64_16x16x4_f64 a[88+0:95+0], v[vgprValuB_X0_I0+2+0+0:vgprValuB_X0_I0+2+0+0+1], v[vgprValuA_X0_I0+12+0+0:vgprValuA_X0_I0+12+0+0+1], a[88:95]
/*  mfmaIndex:13  */
/* localReadsVacancy: latencyLeft 5 */
v_mfma_f64_16x16x4_f64 a[80+0:87+0], v[vgprValuB_X0_I0+2+0+0:vgprValuB_X0_I0+2+0+0+1], v[vgprValuA_X0_I0+8+0+0:vgprValuA_X0_I0+8+0+0+1], a[80:87]
/*  mfmaIndex:14  */
/* localReadsVacancy: latencyLeft 5 */
	;; [unrolled: 3-line block ×3, first 2 shown]
v_mfma_f64_16x16x4_f64 a[64+0:71+0], v[vgprValuB_X0_I0+2+0+0:vgprValuB_X0_I0+2+0+0+1], v[vgprValuA_X0_I0+0+0+0:vgprValuA_X0_I0+0+0+0+1], a[64:71]
/* numPrefetchIter=0 */
/* dataAtIterA=-1 numReadsIterA=1 skipReadsIterA=1 readsPerIterA=8 */
/* dataAtIterB=-1 numReadsIterB=1 skipReadsIterB=1 readsPerIterB=2 */


/* iter 1 (last unrolled loop) */

/*  grEndMfmaIndex:0, lwStartMfmaIndex:49, lwEndMfmaIndex:49  */
/*  numMfmaForLR:12, barrierMfmaIndex:51, LocalWritePerMfma:0.215 */
/*  mfmaIndex:16  */
/* localReadsVacancy: latencyLeft 5 */
s_waitcnt lgkmcnt(4)                               // lgkmcnt=0 vmcnt=-1wait for prior local read local write old=2, new=2 newLW=0 newLR=0
v_mfma_f64_16x16x4_f64 a[0+0:7+0], v[vgprValuB_X1_I0+0+0+0:vgprValuB_X1_I0+0+0+0+1], v[vgprValuA_X0_I0+0+2+0:vgprValuA_X0_I0+0+2+0+1], a[0:7]
/*  mfmaIndex:17  */
/* localReadsVacancy: latencyLeft 5 */
v_mfma_f64_16x16x4_f64 a[8+0:15+0], v[vgprValuB_X1_I0+0+0+0:vgprValuB_X1_I0+0+0+0+1], v[vgprValuA_X0_I0+4+2+0:vgprValuA_X0_I0+4+2+0+1], a[8:15]
/*  mfmaIndex:18  */
/* localReadsVacancy: latencyLeft 5 */
v_mfma_f64_16x16x4_f64 a[16+0:23+0], v[vgprValuB_X1_I0+0+0+0:vgprValuB_X1_I0+0+0+0+1], v[vgprValuA_X0_I0+8+2+0:vgprValuA_X0_I0+8+2+0+1], a[16:23]
/*  mfmaIndex:19  */
/* localReadsVacancy: latencyLeft 5 */
v_mfma_f64_16x16x4_f64 a[24+0:31+0], v[vgprValuB_X1_I0+0+0+0:vgprValuB_X1_I0+0+0+0+1], v[vgprValuA_X0_I0+12+2+0:vgprValuA_X0_I0+12+2+0+1], a[24:31]
/*  mfmaIndex:20  */
/* localReadsVacancy: latencyLeft 5 */
v_mfma_f64_16x16x4_f64 a[32+0:39+0], v[vgprValuB_X1_I0+0+0+0:vgprValuB_X1_I0+0+0+0+1], v[vgprValuA_X0_I0+16+2+0:vgprValuA_X0_I0+16+2+0+1], a[32:39]
/*  mfmaIndex:21  */
/* localReadsVacancy: latencyLeft 5 */
v_mfma_f64_16x16x4_f64 a[40+0:47+0], v[vgprValuB_X1_I0+0+0+0:vgprValuB_X1_I0+0+0+0+1], v[vgprValuA_X0_I0+20+2+0:vgprValuA_X0_I0+20+2+0+1], a[40:47]
/*  mfmaIndex:22  */
/* localReadsVacancy: latencyLeft 5 */
v_mfma_f64_16x16x4_f64 a[48+0:55+0], v[vgprValuB_X1_I0+0+0+0:vgprValuB_X1_I0+0+0+0+1], v[vgprValuA_X0_I0+24+2+0:vgprValuA_X0_I0+24+2+0+1], a[48:55]
/*  mfmaIndex:23  */
/* localReadsVacancy: latencyLeft 5 */
v_mfma_f64_16x16x4_f64 a[56+0:63+0], v[vgprValuB_X1_I0+0+0+0:vgprValuB_X1_I0+0+0+0+1], v[vgprValuA_X0_I0+28+2+0:vgprValuA_X0_I0+28+2+0+1], a[56:63]
/*  mfmaIndex:24  */
/* localReadsVacancy: latencyLeft 5 */
v_mfma_f64_16x16x4_f64 a[120+0:127+0], v[vgprValuB_X1_I0+2+0+0:vgprValuB_X1_I0+2+0+0+1], v[vgprValuA_X0_I0+28+2+0:vgprValuA_X0_I0+28+2+0+1], a[120:127]
/*  mfmaIndex:25  */
/* localReadsVacancy: latencyLeft 5 */
v_mfma_f64_16x16x4_f64 a[112+0:119+0], v[vgprValuB_X1_I0+2+0+0:vgprValuB_X1_I0+2+0+0+1], v[vgprValuA_X0_I0+24+2+0:vgprValuA_X0_I0+24+2+0+1], a[112:119]
/*  mfmaIndex:26  */
/* localReadsVacancy: latencyLeft 5 */
v_mfma_f64_16x16x4_f64 a[104+0:111+0], v[vgprValuB_X1_I0+2+0+0:vgprValuB_X1_I0+2+0+0+1], v[vgprValuA_X0_I0+20+2+0:vgprValuA_X0_I0+20+2+0+1], a[104:111]
/*  mfmaIndex:27  */
/* localReadsVacancy: latencyLeft 5 */
v_mfma_f64_16x16x4_f64 a[96+0:103+0], v[vgprValuB_X1_I0+2+0+0:vgprValuB_X1_I0+2+0+0+1], v[vgprValuA_X0_I0+16+2+0:vgprValuA_X0_I0+16+2+0+1], a[96:103]
/*  mfmaIndex:28  */
/* localReadsVacancy: latencyLeft 5 */
v_mfma_f64_16x16x4_f64 a[88+0:95+0], v[vgprValuB_X1_I0+2+0+0:vgprValuB_X1_I0+2+0+0+1], v[vgprValuA_X0_I0+12+2+0:vgprValuA_X0_I0+12+2+0+1], a[88:95]
/*  mfmaIndex:29  */
/* localReadsVacancy: latencyLeft 5 */
v_mfma_f64_16x16x4_f64 a[80+0:87+0], v[vgprValuB_X1_I0+2+0+0:vgprValuB_X1_I0+2+0+0+1], v[vgprValuA_X0_I0+8+2+0:vgprValuA_X0_I0+8+2+0+1], a[80:87]
/*  mfmaIndex:30  */
/* localReadsVacancy: latencyLeft 5 */
v_mfma_f64_16x16x4_f64 a[72+0:79+0], v[vgprValuB_X1_I0+2+0+0:vgprValuB_X1_I0+2+0+0+1], v[vgprValuA_X0_I0+4+2+0:vgprValuA_X0_I0+4+2+0+1], a[72:79]
/*  mfmaIndex:31  */
/* localReadsVacancy: latencyLeft 5 */
v_mfma_f64_16x16x4_f64 a[64+0:71+0], v[vgprValuB_X1_I0+2+0+0:vgprValuB_X1_I0+2+0+0+1], v[vgprValuA_X0_I0+0+2+0:vgprValuA_X0_I0+0+2+0+1], a[64:71]
/* numPrefetchIter=0 */
/* dataAtIterA=-1 numReadsIterA=1 skipReadsIterA=0 readsPerIterA=8 */
/* dataAtIterB=0 numReadsIterB=2 skipReadsIterB=1 readsPerIterB=2 */


/* iter 2 (last unrolled loop) */

/*  grEndMfmaIndex:0, lwStartMfmaIndex:49, lwEndMfmaIndex:49  */
/*  numMfmaForLR:12, barrierMfmaIndex:51, LocalWritePerMfma:0.215 */
/*  mfmaIndex:32  */
/* localReadsVacancy: latencyLeft 5 */
s_waitcnt lgkmcnt(0)                               // lgkmcnt=0 vmcnt=-1wait for prior local read local write old=0, new=0 newLW=0 newLR=0
v_mfma_f64_16x16x4_f64 a[0+0:7+0], v[vgprValuB_X2_I0+0+0+0:vgprValuB_X2_I0+0+0+0+1], v[vgprValuA_X2_I0+0+0+0:vgprValuA_X2_I0+0+0+0+1], a[0:7]
/*  mfmaIndex:33  */
/* localReadsVacancy: latencyLeft 5 */
v_mfma_f64_16x16x4_f64 a[8+0:15+0], v[vgprValuB_X2_I0+0+0+0:vgprValuB_X2_I0+0+0+0+1], v[vgprValuA_X2_I0+4+0+0:vgprValuA_X2_I0+4+0+0+1], a[8:15]
/*  mfmaIndex:34  */
/* localReadsVacancy: latencyLeft 5 */
	;; [unrolled: 3-line block ×15, first 2 shown]
v_mfma_f64_16x16x4_f64 a[64+0:71+0], v[vgprValuB_X2_I0+2+0+0:vgprValuB_X2_I0+2+0+0+1], v[vgprValuA_X2_I0+0+0+0:vgprValuA_X2_I0+0+0+0+1], a[64:71]
/* numPrefetchIter=0 */
/* dataAtIterA=0 numReadsIterA=1 skipReadsIterA=0 readsPerIterA=8 */
/* dataAtIterB=1 numReadsIterB=3 skipReadsIterB=1 readsPerIterB=2 */


/* iter 3 (last unrolled loop) */

/*  grEndMfmaIndex:0, lwStartMfmaIndex:49, lwEndMfmaIndex:49  */
/*  numMfmaForLR:12, barrierMfmaIndex:51, LocalWritePerMfma:0.215 */
/*  mfmaIndex:48  */
/* 1 LDS buffer: read-sync-write */
s_waitcnt lgkmcnt(0)                               // 
s_barrier                                          // 
s_waitcnt lgkmcnt(0)                               // lgkmcnt=0 vmcnt=-1wait for prior local read local write old=0, new=0 newLW=0 newLR=0
v_mfma_f64_16x16x4_f64 a[0+0:7+0], v[vgprValuB_X3_I0+0+0+0:vgprValuB_X3_I0+0+0+0+1], v[vgprValuA_X2_I0+0+2+0:vgprValuA_X2_I0+0+2+0+1], a[0:7]
/*  mfmaIndex:49  */
s_setprio 3                                        // store optimization
v_mfma_f64_16x16x4_f64 a[8+0:15+0], v[vgprValuB_X3_I0+0+0+0:vgprValuB_X3_I0+0+0+0+1], v[vgprValuA_X2_I0+4+2+0:vgprValuA_X2_I0+4+2+0+1], a[8:15]
/*  mfmaIndex:50  */
v_mfma_f64_16x16x4_f64 a[16+0:23+0], v[vgprValuB_X3_I0+0+0+0:vgprValuB_X3_I0+0+0+0+1], v[vgprValuA_X2_I0+8+2+0:vgprValuA_X2_I0+8+2+0+1], a[16:23]
s_setprio 0                                        // store optimization
/*  mfmaIndex:51  */
v_mfma_f64_16x16x4_f64 a[24+0:31+0], v[vgprValuB_X3_I0+0+0+0:vgprValuB_X3_I0+0+0+0+1], v[vgprValuA_X2_I0+12+2+0:vgprValuA_X2_I0+12+2+0+1], a[24:31]
/*  mfmaIndex:52  */
s_setprio 3                                        // store optimization
v_mfma_f64_16x16x4_f64 a[32+0:39+0], v[vgprValuB_X3_I0+0+0+0:vgprValuB_X3_I0+0+0+0+1], v[vgprValuA_X2_I0+16+2+0:vgprValuA_X2_I0+16+2+0+1], a[32:39]
/*  mfmaIndex:53  */
v_mfma_f64_16x16x4_f64 a[40+0:47+0], v[vgprValuB_X3_I0+0+0+0:vgprValuB_X3_I0+0+0+0+1], v[vgprValuA_X2_I0+20+2+0:vgprValuA_X2_I0+20+2+0+1], a[40:47]
/*  mfmaIndex:54  */
v_mfma_f64_16x16x4_f64 a[48+0:55+0], v[vgprValuB_X3_I0+0+0+0:vgprValuB_X3_I0+0+0+0+1], v[vgprValuA_X2_I0+24+2+0:vgprValuA_X2_I0+24+2+0+1], a[48:55]
/*  mfmaIndex:55  */
v_mfma_f64_16x16x4_f64 a[56+0:63+0], v[vgprValuB_X3_I0+0+0+0:vgprValuB_X3_I0+0+0+0+1], v[vgprValuA_X2_I0+28+2+0:vgprValuA_X2_I0+28+2+0+1], a[56:63]
/*  mfmaIndex:56  */
v_mfma_f64_16x16x4_f64 a[120+0:127+0], v[vgprValuB_X3_I0+2+0+0:vgprValuB_X3_I0+2+0+0+1], v[vgprValuA_X2_I0+28+2+0:vgprValuA_X2_I0+28+2+0+1], a[120:127]
/*  mfmaIndex:57  */
v_mfma_f64_16x16x4_f64 a[112+0:119+0], v[vgprValuB_X3_I0+2+0+0:vgprValuB_X3_I0+2+0+0+1], v[vgprValuA_X2_I0+24+2+0:vgprValuA_X2_I0+24+2+0+1], a[112:119]
/*  mfmaIndex:58  */
v_mfma_f64_16x16x4_f64 a[104+0:111+0], v[vgprValuB_X3_I0+2+0+0:vgprValuB_X3_I0+2+0+0+1], v[vgprValuA_X2_I0+20+2+0:vgprValuA_X2_I0+20+2+0+1], a[104:111]
/*  mfmaIndex:59  */
v_mfma_f64_16x16x4_f64 a[96+0:103+0], v[vgprValuB_X3_I0+2+0+0:vgprValuB_X3_I0+2+0+0+1], v[vgprValuA_X2_I0+16+2+0:vgprValuA_X2_I0+16+2+0+1], a[96:103]
/*  mfmaIndex:60  */
v_mfma_f64_16x16x4_f64 a[88+0:95+0], v[vgprValuB_X3_I0+2+0+0:vgprValuB_X3_I0+2+0+0+1], v[vgprValuA_X2_I0+12+2+0:vgprValuA_X2_I0+12+2+0+1], a[88:95]
/*  mfmaIndex:61  */
v_mfma_f64_16x16x4_f64 a[80+0:87+0], v[vgprValuB_X3_I0+2+0+0:vgprValuB_X3_I0+2+0+0+1], v[vgprValuA_X2_I0+8+2+0:vgprValuA_X2_I0+8+2+0+1], a[80:87]
/*  mfmaIndex:62  */
v_mfma_f64_16x16x4_f64 a[72+0:79+0], v[vgprValuB_X3_I0+2+0+0:vgprValuB_X3_I0+2+0+0+1], v[vgprValuA_X2_I0+4+2+0:vgprValuA_X2_I0+4+2+0+1], a[72:79]
/*  mfmaIndex:63  */
v_mfma_f64_16x16x4_f64 a[64+0:71+0], v[vgprValuB_X3_I0+2+0+0:vgprValuB_X3_I0+2+0+0+1], v[vgprValuA_X2_I0+0+2+0:vgprValuA_X2_I0+0+2+0+1], a[64:71]
/* numPrefetchIter=0 */
/* dataAtIterA=0 numReadsIterA=1 skipReadsIterA=0 readsPerIterA=8 */
/* dataAtIterB=2 numReadsIterB=3 skipReadsIterB=0 readsPerIterB=2 */

PrefetchGlobalLastIterEnd_5:


/******************************************/
/* Tail Loop                              */
/******************************************/


/* local write reset offsets a */


	;; [unrolled: 1-line block ×4, first 2 shown]
/* local write reset offsets b */


	;; [unrolled: 1-line block ×4, first 2 shown]
//numIterL = (((sizeL % LOCAL_DEPTHU) + LOCAL_SPLITU - 1) / LOCAL_SPLITU)
s_and_b32 s[sgprLoopCounterL], 15, s[sgprSizesSum+0] // s[sgprLoopCounterL] = s[sgprSizesSum+0] % 16
s_cmp_eq_u32 s[sgprLoopCounterL], 0x0              // numIterL == 0
s_cbranch_scc1 SkipTailLoopL_8                     // skip to end of tail loop b/c numIter==0
s_mov_b32 s[sgprOrigLoopCounter], 0                // repurpose to count each localRead increment


/* Update M0 for DTLDS */


	;; [unrolled: 1-line block ×3, first 2 shown]
/* global read a */

/* g2l=0, load component 0 */
_buffer_load_b64 v[vgprG2LA+0+0:vgprG2LA+0+0+1], v[vgprGlobalReadOffsetA+0], s[sgprSrdA:sgprSrdA+3], 0, offen offset:0 // load one buffer value
/* g2l=0, load component 1 */
_buffer_load_b64 v[vgprG2LA+0+2:vgprG2LA+0+2+1], v[vgprGlobalReadOffsetA+0], s[sgprSrdA:sgprSrdA+3], 0, offen offset:8 // load one buffer value
	;; [unrolled: 2-line block ×8, first 2 shown]


/* Update M0 for DTLDS */



/* global read b */

/* g2l=0, load component 0 */
_buffer_load_b64 v[vgprG2LB+0+0:vgprG2LB+0+0+1], v[vgprGlobalReadOffsetB+0], s[sgprSrdB:sgprSrdB+3], 0, offen offset:0 // load one buffer value
/* g2l=0, load component 1 */
_buffer_load_b64 v[vgprG2LB+0+2:vgprG2LB+0+2+1], v[vgprGlobalReadOffsetB+0], s[sgprSrdB:sgprSrdB+3], 0, offen offset:8 // load one buffer value
	;; [unrolled: 2-line block ×8, first 2 shown]

s_waitcnt vmcnt(0)                                 // lgkmcnt=-1 vmcnt=02wait for global read

// Skip force waitcnt0
s_barrier //


/* Done global A/B reads */


	;; [unrolled: 1-line block ×4, first 2 shown]
/* local write a */

_ds_store_b128 v[vgprLocalWriteAddrA], v[vgprG2LA+0:vgprG2LA+0+3] offset:0 // lwoA_0_0_0_0 = (0*LSCA)*(MT0I+PAD) + (0*LSPA) = 0
_ds_store_b128 v[vgprLocalWriteAddrA], v[vgprG2LA+4:vgprG2LA+4+3] offset:5120 // lwoA_0_0_1_0 = (0*LSCA)*(MT0I+PAD) + (1*LSPA) = 5120
_ds_store_b128 v[vgprLocalWriteAddrA], v[vgprG2LA+8:vgprG2LA+8+3] offset:10240 // lwoA_0_0_2_0 = (0*LSCA)*(MT0I+PAD) + (2*LSPA) = 10240
_ds_store_b128 v[vgprLocalWriteAddrA], v[vgprG2LA+12:vgprG2LA+12+3] offset:15360 // lwoA_0_0_3_0 = (0*LSCA)*(MT0I+PAD) + (3*LSPA) = 15360


/* local write b */

_ds_store_b128 v[vgprLocalWriteAddrB], v[vgprG2LB+0:vgprG2LB+0+3] offset:0 // lwoB_0_0_0_0 = (0*LSCB) + (0*LSPB)(*MT1J+PAD) = 0
_ds_store_b128 v[vgprLocalWriteAddrB], v[vgprG2LB+4:vgprG2LB+4+3] offset:4096 // lwoB_0_0_1_0 = (0*LSCB) + (1*LSPB)(*MT1J+PAD) = 4096
_ds_store_b128 v[vgprLocalWriteAddrB], v[vgprG2LB+8:vgprG2LB+8+3] offset:8192 // lwoB_0_0_2_0 = (0*LSCB) + (2*LSPB)(*MT1J+PAD) = 8192
_ds_store_b128 v[vgprLocalWriteAddrB], v[vgprG2LB+12:vgprG2LB+12+3] offset:12288 // lwoB_0_0_3_0 = (0*LSCB) + (3*LSPB)(*MT1J+PAD) = 12288


/* Recalc local read offsets */

/*lr0I*/
v_and_b32 v126, 63, v[vgprSerial]                  // 0. thread id in wave: wtid = tid % wavelength(64)
v_and_b32 v125, 15, v126                           // 1. N offset: nIdx = wtid % MI_N(16)
v_lshlrev_b32 v125, 0x4, v125                      // 1. N offset: nOffset = nIdx * nStride(16)
                                                   // 2. block offset: bnIdx = bnIdx % num1DBlocks(1) is 0. do nothing
                                                   // 4. apply VectorWidth: bnOffset = bnOffset * vw(1) (multiplier is 1, do nothing)
v_lshrrev_b32 v126, 4, v126                        // 5. K offset: kIdx = wtid / (MIN(16) * MIBB(1))
                                                   // 5. K offset: lrKOffset = kIdx * mStride(1) (multiplier is 1, do nothing)
_v_add_u32 v125, v126, v125                        // 6. offset in wave: lrOffset = bnOffset + lrKOffset
/*lr1J*/
v_and_b32 v127, 63, v[vgprSerial]                  // 0. thread id in wave: wtid = tid % wavelength(64)
v_and_b32 v126, 15, v127                           // 1. N offset: nIdx = wtid % MI_N(16)
                                                   // 1. N offset: nOffset = nIdx * nStride(1) (multiplier is 1, do nothing)
                                                   // 2. block offset: bnIdx = bnIdx % num1DBlocks(1) is 0. do nothing
                                                   // 4. apply VectorWidth: bnOffset = bnOffset * vw(1) (multiplier is 1, do nothing)
v_lshrrev_b32 v127, 4, v127                        // 5. K offset: kIdx = wtid / (MIN(16) * MIBB(1))
v_lshlrev_b32 v127, 0x7, v127                      // 5. K offset: lrKOffset = kIdx * mStride(128)
_v_add_u32 v126, v127, v126                        // 6. offset in wave: lrOffset = bnOffset + lrKOffset
v_lshrrev_b32 v128, 6, v[vgprSerial]               // 7. wave offset in N dimen: wtid = tid / dividedForWaveId(64)
v_and_b32 v127, 3, v128                            // 7. wave offset in M dimen: wtid0 = wtid / num1DWaves(4)
v_lshlrev_b32 v127, 0x4, v127                      // 7. wave offset in M dimen: wOffset = wtid0 * W0Stride(16)
_v_add_u32 v126, v127, v126                        // 8. final local read offset: flrOffset = lrOffset + WOffset
v_lshlrev_b32 v[vgprLocalReadAddrA], 0x3, v125     // Final Offset: offset = (lro0)*bpe
v_lshrrev_b32 v125, 7, v[vgprLocalReadAddrA]       // Final Offset: padding 4 per block 128
v_lshlrev_b32 v125, 0x5, v125                      // Final Offset: padding 4 per block 128
_v_add_u32 v[vgprLocalReadAddrA], v125, v[vgprLocalReadAddrA] // Final Offset: add padding 4 per block 128
/* N/A */
v_lshlrev_b32 v[vgprLocalReadAddrB], 0x3, v126     // Final Offset: offset = (lro1)*bpe
_v_add_co_u32 v[vgprLocalReadAddrB+0], vcc, 0x5000, v[vgprLocalReadAddrB+0] //  += LdsOffsetB (lower)

s_waitcnt lgkmcnt(0)                               // lgkmcnt=0 vmcnt=-15wait for local write

// Skip force waitcnt0
s_barrier //


/* local read reset offsets a */


	;; [unrolled: 1-line block ×3, first 2 shown]
/* local read reset offsets b */


	;; [unrolled: 1-line block ×3, first 2 shown]
/* local read init pointers a */


/* localReadInitPointers */


/* local read init pointers b */


/* localReadInitPointers */


/* tail loop: macs */

TailLoopBeginL_6:


/* tail loop unroll iter 0 */


/* local read a */

_ds_load_b64 v[vgprValuA_X0_I0+0:vgprValuA_X0_I0+0+1], v[vgprLocalReadAddrA] offset:0 // L -> Reg lro=0 swapByteOffset=0 ti=16 vIdx=0 rIdx=0 oIdx=0 buffer=0 iui=0
_ds_load_b64 v[vgprValuA_X0_I0+2:vgprValuA_X0_I0+2+1], v[vgprLocalReadAddrA] offset:2560 // L -> Reg lro=0 swapByteOffset=0 ti=16 vIdx=1 rIdx=0 oIdx=0 buffer=0 iui=0
	;; [unrolled: 1-line block ×8, first 2 shown]


/* local read b */

_ds_load_b64 v[vgprValuB_X0_I0+0:vgprValuB_X0_I0+0+1], v[vgprLocalReadAddrB] offset:0 // L -> Reg lro=0 swapByteOffset=0 ti=64 vIdx=0 rIdx=0 oIdx=0 buffer=0 iui=0
_ds_load_b64 v[vgprValuB_X0_I0+2:vgprValuB_X0_I0+2+1], v[vgprLocalReadAddrB] offset:512 // L -> Reg lro=0 swapByteOffset=0 ti=64 vIdx=1 rIdx=0 oIdx=0 buffer=0 iui=0


/* local read inc a */

s_mov_b32 s31, 0x20                                // inc
_v_add_co_u32 v[vgprLocalReadAddrA], vcc, s31, v[vgprLocalReadAddrA] // lrA += 32 (LSU*bpe)


/* local read inc b */

s_mov_b32 s31, 0x1000                              // inc
_v_add_co_u32 v[vgprLocalReadAddrB], vcc, s31, v[vgprLocalReadAddrB] // lrB += 4096 (LSU*(MT+PAD)*bpe)

s_waitcnt lgkmcnt(0)                               // lgkmcnt=0 vmcnt=-14wait for local read


	;; [unrolled: 1-line block ×3, first 2 shown]
/* tail loop mfma iter 0: numReadsIterCoalescedA=1, numReadsIterCoalescedB=1 */
v_and_b32 v125, 63, v[vgprSerial]                  // v125 = v[vgprSerial] % 64
v_lshrrev_b32 v125, 4, v125                        // v125 = v125 / 16
                                                   // v125 = v125 * 1 (multiplier is 1, do nothing)
v_cmp_ge_i32 s[32:33], v125, s[sgprLoopCounterL]   // check K index >= Size L
v_cndmask_b32 v[vgprValuA_X0_I0+0+0+0+0], v[vgprValuA_X0_I0+0+0+0+0], 0x0, s[32:33] // set 0 if K_idx >= sizeL
v_cndmask_b32 v[vgprValuA_X0_I0+2+0+0+0], v[vgprValuA_X0_I0+2+0+0+0], 0x0, s[32:33] // set 0 if K_idx >= sizeL
	;; [unrolled: 1-line block ×16, first 2 shown]
s_nop 1
v_mfma_f64_16x16x4_f64 a[0+0:7+0], v[vgprValuB_X0_I0+0+0+0:vgprValuB_X0_I0+0+0+0+1], v[vgprValuA_X0_I0+0+0+0:vgprValuA_X0_I0+0+0+0+1], a[0:7]
v_mfma_f64_16x16x4_f64 a[8+0:15+0], v[vgprValuB_X0_I0+0+0+0:vgprValuB_X0_I0+0+0+0+1], v[vgprValuA_X0_I0+2+0+0:vgprValuA_X0_I0+2+0+0+1], a[8:15]
	;; [unrolled: 1-line block ×16, first 2 shown]


/* closeLoop loopL finalLoop=0 tailLoop=1 */
s_sub_i32 s[sgprLoopCounterL], s[sgprLoopCounterL], 0x4 // dec counterL (tailLoop)
s_add_u32 s[sgprOrigLoopCounter], s[sgprOrigLoopCounter], 0x4 // inc counterL
s_cmp_le_i32 s[sgprLoopCounterL], 0x0              // counterL<=0
s_cbranch_scc1 TailLoopEndL_7                      // exit LoopL


/* tail loop unroll iter 1 */


/* local read a */

_ds_load_b64 v[vgprValuA_X1_I0+0:vgprValuA_X1_I0+0+1], v[vgprLocalReadAddrA] offset:0 // L -> Reg lro=0 swapByteOffset=0 ti=16 vIdx=0 rIdx=0 oIdx=0 buffer=1 iui=0
_ds_load_b64 v[vgprValuA_X1_I0+2:vgprValuA_X1_I0+2+1], v[vgprLocalReadAddrA] offset:2560 // L -> Reg lro=0 swapByteOffset=0 ti=16 vIdx=1 rIdx=0 oIdx=0 buffer=1 iui=0
	;; [unrolled: 1-line block ×8, first 2 shown]


/* local read b */

_ds_load_b64 v[vgprValuB_X1_I0+0:vgprValuB_X1_I0+0+1], v[vgprLocalReadAddrB] offset:0 // L -> Reg lro=0 swapByteOffset=0 ti=64 vIdx=0 rIdx=0 oIdx=0 buffer=1 iui=0
_ds_load_b64 v[vgprValuB_X1_I0+2:vgprValuB_X1_I0+2+1], v[vgprLocalReadAddrB] offset:512 // L -> Reg lro=0 swapByteOffset=0 ti=64 vIdx=1 rIdx=0 oIdx=0 buffer=1 iui=0


/* local read inc a */

s_mov_b32 s31, 0x20                                // inc
_v_add_co_u32 v[vgprLocalReadAddrA], vcc, s31, v[vgprLocalReadAddrA] // lrA += 32 (LSU*bpe)


/* local read inc b */

s_mov_b32 s31, 0x1000                              // inc
_v_add_co_u32 v[vgprLocalReadAddrB], vcc, s31, v[vgprLocalReadAddrB] // lrB += 4096 (LSU*(MT+PAD)*bpe)

s_waitcnt lgkmcnt(0)                               // lgkmcnt=0 vmcnt=-14wait for local read


	;; [unrolled: 1-line block ×3, first 2 shown]
/* tail loop mfma iter 1: numReadsIterCoalescedA=1, numReadsIterCoalescedB=1 */
v_and_b32 v125, 63, v[vgprSerial]                  // v125 = v[vgprSerial] % 64
v_lshrrev_b32 v125, 4, v125                        // v125 = v125 / 16
                                                   // v125 = v125 * 1 (multiplier is 1, do nothing)
v_cmp_ge_i32 s[32:33], v125, s[sgprLoopCounterL]   // check K index >= Size L
v_cndmask_b32 v[vgprValuA_X1_I0+0+0+0+0], v[vgprValuA_X1_I0+0+0+0+0], 0x0, s[32:33] // set 0 if K_idx >= sizeL
v_cndmask_b32 v[vgprValuA_X1_I0+2+0+0+0], v[vgprValuA_X1_I0+2+0+0+0], 0x0, s[32:33] // set 0 if K_idx >= sizeL
	;; [unrolled: 1-line block ×16, first 2 shown]
s_nop 1
v_mfma_f64_16x16x4_f64 a[0+0:7+0], v[vgprValuB_X1_I0+0+0+0:vgprValuB_X1_I0+0+0+0+1], v[vgprValuA_X1_I0+0+0+0:vgprValuA_X1_I0+0+0+0+1], a[0:7]
v_mfma_f64_16x16x4_f64 a[8+0:15+0], v[vgprValuB_X1_I0+0+0+0:vgprValuB_X1_I0+0+0+0+1], v[vgprValuA_X1_I0+2+0+0:vgprValuA_X1_I0+2+0+0+1], a[8:15]
	;; [unrolled: 1-line block ×16, first 2 shown]


/* closeLoop loopL finalLoop=0 tailLoop=1 */
s_sub_i32 s[sgprLoopCounterL], s[sgprLoopCounterL], 0x4 // dec counterL (tailLoop)
s_add_u32 s[sgprOrigLoopCounter], s[sgprOrigLoopCounter], 0x4 // inc counterL
s_cmp_le_i32 s[sgprLoopCounterL], 0x0              // counterL<=0
s_cbranch_scc1 TailLoopEndL_7                      // exit LoopL


/* tail loop unroll iter 2 */


/* local read a */

_ds_load_b64 v[vgprValuA_X2_I0+0:vgprValuA_X2_I0+0+1], v[vgprLocalReadAddrA] offset:0 // L -> Reg lro=0 swapByteOffset=0 ti=16 vIdx=0 rIdx=0 oIdx=0 buffer=2 iui=0
_ds_load_b64 v[vgprValuA_X2_I0+2:vgprValuA_X2_I0+2+1], v[vgprLocalReadAddrA] offset:2560 // L -> Reg lro=0 swapByteOffset=0 ti=16 vIdx=1 rIdx=0 oIdx=0 buffer=2 iui=0
	;; [unrolled: 1-line block ×8, first 2 shown]


/* local read b */

_ds_load_b64 v[vgprValuB_X2_I0+0:vgprValuB_X2_I0+0+1], v[vgprLocalReadAddrB] offset:0 // L -> Reg lro=0 swapByteOffset=0 ti=64 vIdx=0 rIdx=0 oIdx=0 buffer=2 iui=0
_ds_load_b64 v[vgprValuB_X2_I0+2:vgprValuB_X2_I0+2+1], v[vgprLocalReadAddrB] offset:512 // L -> Reg lro=0 swapByteOffset=0 ti=64 vIdx=1 rIdx=0 oIdx=0 buffer=2 iui=0


/* local read inc a */

s_mov_b32 s31, 0x20                                // inc
_v_add_co_u32 v[vgprLocalReadAddrA], vcc, s31, v[vgprLocalReadAddrA] // lrA += 32 (LSU*bpe)


/* local read inc b */

s_mov_b32 s31, 0x1000                              // inc
_v_add_co_u32 v[vgprLocalReadAddrB], vcc, s31, v[vgprLocalReadAddrB] // lrB += 4096 (LSU*(MT+PAD)*bpe)

s_waitcnt lgkmcnt(0)                               // lgkmcnt=0 vmcnt=-14wait for local read


	;; [unrolled: 1-line block ×3, first 2 shown]
/* tail loop mfma iter 2: numReadsIterCoalescedA=1, numReadsIterCoalescedB=1 */
v_and_b32 v125, 63, v[vgprSerial]                  // v125 = v[vgprSerial] % 64
v_lshrrev_b32 v125, 4, v125                        // v125 = v125 / 16
                                                   // v125 = v125 * 1 (multiplier is 1, do nothing)
v_cmp_ge_i32 s[32:33], v125, s[sgprLoopCounterL]   // check K index >= Size L
v_cndmask_b32 v[vgprValuA_X2_I0+0+0+0+0], v[vgprValuA_X2_I0+0+0+0+0], 0x0, s[32:33] // set 0 if K_idx >= sizeL
v_cndmask_b32 v[vgprValuA_X2_I0+2+0+0+0], v[vgprValuA_X2_I0+2+0+0+0], 0x0, s[32:33] // set 0 if K_idx >= sizeL
v_cndmask_b32 v[vgprValuA_X2_I0+4+0+0+0], v[vgprValuA_X2_I0+4+0+0+0], 0x0, s[32:33] // set 0 if K_idx >= sizeL
v_cndmask_b32 v[vgprValuA_X2_I0+6+0+0+0], v[vgprValuA_X2_I0+6+0+0+0], 0x0, s[32:33] // set 0 if K_idx >= sizeL
v_cndmask_b32 v[vgprValuA_X2_I0+8+0+0+0], v[vgprValuA_X2_I0+8+0+0+0], 0x0, s[32:33] // set 0 if K_idx >= sizeL
v_cndmask_b32 v[vgprValuA_X2_I0+10+0+0+0], v[vgprValuA_X2_I0+10+0+0+0], 0x0, s[32:33] // set 0 if K_idx >= sizeL
v_cndmask_b32 v[vgprValuA_X2_I0+12+0+0+0], v[vgprValuA_X2_I0+12+0+0+0], 0x0, s[32:33] // set 0 if K_idx >= sizeL
v_cndmask_b32 v[vgprValuA_X2_I0+14+0+0+0], v[vgprValuA_X2_I0+14+0+0+0], 0x0, s[32:33] // set 0 if K_idx >= sizeL
v_cndmask_b32 v[vgprValuA_X2_I0+0+0+0+1], v[vgprValuA_X2_I0+0+0+0+1], 0x0, s[32:33] // set 0 if K_idx >= sizeL
v_cndmask_b32 v[vgprValuA_X2_I0+2+0+0+1], v[vgprValuA_X2_I0+2+0+0+1], 0x0, s[32:33] // set 0 if K_idx >= sizeL
v_cndmask_b32 v[vgprValuA_X2_I0+4+0+0+1], v[vgprValuA_X2_I0+4+0+0+1], 0x0, s[32:33] // set 0 if K_idx >= sizeL
v_cndmask_b32 v[vgprValuA_X2_I0+6+0+0+1], v[vgprValuA_X2_I0+6+0+0+1], 0x0, s[32:33] // set 0 if K_idx >= sizeL
v_cndmask_b32 v[vgprValuA_X2_I0+8+0+0+1], v[vgprValuA_X2_I0+8+0+0+1], 0x0, s[32:33] // set 0 if K_idx >= sizeL
v_cndmask_b32 v[vgprValuA_X2_I0+10+0+0+1], v[vgprValuA_X2_I0+10+0+0+1], 0x0, s[32:33] // set 0 if K_idx >= sizeL
v_cndmask_b32 v[vgprValuA_X2_I0+12+0+0+1], v[vgprValuA_X2_I0+12+0+0+1], 0x0, s[32:33] // set 0 if K_idx >= sizeL
v_cndmask_b32 v[vgprValuA_X2_I0+14+0+0+1], v[vgprValuA_X2_I0+14+0+0+1], 0x0, s[32:33] // set 0 if K_idx >= sizeL
s_nop 1
v_mfma_f64_16x16x4_f64 a[0+0:7+0], v[vgprValuB_X2_I0+0+0+0:vgprValuB_X2_I0+0+0+0+1], v[vgprValuA_X2_I0+0+0+0:vgprValuA_X2_I0+0+0+0+1], a[0:7]
v_mfma_f64_16x16x4_f64 a[8+0:15+0], v[vgprValuB_X2_I0+0+0+0:vgprValuB_X2_I0+0+0+0+1], v[vgprValuA_X2_I0+2+0+0:vgprValuA_X2_I0+2+0+0+1], a[8:15]
	;; [unrolled: 1-line block ×16, first 2 shown]


/* closeLoop loopL finalLoop=0 tailLoop=1 */
s_sub_i32 s[sgprLoopCounterL], s[sgprLoopCounterL], 0x4 // dec counterL (tailLoop)
s_add_u32 s[sgprOrigLoopCounter], s[sgprOrigLoopCounter], 0x4 // inc counterL
s_cmp_le_i32 s[sgprLoopCounterL], 0x0              // counterL<=0
s_cbranch_scc1 TailLoopEndL_7                      // exit LoopL


/* tail loop unroll iter 3 */


/* local read a */

_ds_load_b64 v[vgprValuA_X3_I0+0:vgprValuA_X3_I0+0+1], v[vgprLocalReadAddrA] offset:0 // L -> Reg lro=0 swapByteOffset=0 ti=16 vIdx=0 rIdx=0 oIdx=0 buffer=3 iui=0
_ds_load_b64 v[vgprValuA_X3_I0+2:vgprValuA_X3_I0+2+1], v[vgprLocalReadAddrA] offset:2560 // L -> Reg lro=0 swapByteOffset=0 ti=16 vIdx=1 rIdx=0 oIdx=0 buffer=3 iui=0
_ds_load_b64 v[vgprValuA_X3_I0+4:vgprValuA_X3_I0+4+1], v[vgprLocalReadAddrA] offset:5120 // L -> Reg lro=0 swapByteOffset=0 ti=16 vIdx=2 rIdx=0 oIdx=0 buffer=3 iui=0
_ds_load_b64 v[vgprValuA_X3_I0+6:vgprValuA_X3_I0+6+1], v[vgprLocalReadAddrA] offset:7680 // L -> Reg lro=0 swapByteOffset=0 ti=16 vIdx=3 rIdx=0 oIdx=0 buffer=3 iui=0
_ds_load_b64 v[vgprValuA_X3_I0+8:vgprValuA_X3_I0+8+1], v[vgprLocalReadAddrA] offset:10240 // L -> Reg lro=0 swapByteOffset=0 ti=16 vIdx=4 rIdx=0 oIdx=0 buffer=3 iui=0
_ds_load_b64 v[vgprValuA_X3_I0+10:vgprValuA_X3_I0+10+1], v[vgprLocalReadAddrA] offset:12800 // L -> Reg lro=0 swapByteOffset=0 ti=16 vIdx=5 rIdx=0 oIdx=0 buffer=3 iui=0
_ds_load_b64 v[vgprValuA_X3_I0+12:vgprValuA_X3_I0+12+1], v[vgprLocalReadAddrA] offset:15360 // L -> Reg lro=0 swapByteOffset=0 ti=16 vIdx=6 rIdx=0 oIdx=0 buffer=3 iui=0
_ds_load_b64 v[vgprValuA_X3_I0+14:vgprValuA_X3_I0+14+1], v[vgprLocalReadAddrA] offset:17920 // L -> Reg lro=0 swapByteOffset=0 ti=16 vIdx=7 rIdx=0 oIdx=0 buffer=3 iui=0


/* local read b */

_ds_load_b64 v[vgprValuB_X3_I0+0:vgprValuB_X3_I0+0+1], v[vgprLocalReadAddrB] offset:0 // L -> Reg lro=0 swapByteOffset=0 ti=64 vIdx=0 rIdx=0 oIdx=0 buffer=3 iui=0
_ds_load_b64 v[vgprValuB_X3_I0+2:vgprValuB_X3_I0+2+1], v[vgprLocalReadAddrB] offset:512 // L -> Reg lro=0 swapByteOffset=0 ti=64 vIdx=1 rIdx=0 oIdx=0 buffer=3 iui=0


/* local read inc a */

s_mov_b32 s31, 0x40                                // inc
_v_add_co_u32 v[vgprLocalReadAddrA], vcc, s31, v[vgprLocalReadAddrA] // lrA += 64 (LSU*bpe)


/* local read inc b */

s_mov_b32 s31, 0x1000                              // inc
_v_add_co_u32 v[vgprLocalReadAddrB], vcc, s31, v[vgprLocalReadAddrB] // lrB += 4096 (LSU*(MT+PAD)*bpe)

s_waitcnt lgkmcnt(0)                               // lgkmcnt=0 vmcnt=-14wait for local read


	;; [unrolled: 1-line block ×3, first 2 shown]
/* tail loop mfma iter 3: numReadsIterCoalescedA=1, numReadsIterCoalescedB=1 */
v_and_b32 v125, 63, v[vgprSerial]                  // v125 = v[vgprSerial] % 64
v_lshrrev_b32 v125, 4, v125                        // v125 = v125 / 16
                                                   // v125 = v125 * 1 (multiplier is 1, do nothing)
v_cmp_ge_i32 s[32:33], v125, s[sgprLoopCounterL]   // check K index >= Size L
v_cndmask_b32 v[vgprValuA_X3_I0+0+0+0+0], v[vgprValuA_X3_I0+0+0+0+0], 0x0, s[32:33] // set 0 if K_idx >= sizeL
v_cndmask_b32 v[vgprValuA_X3_I0+2+0+0+0], v[vgprValuA_X3_I0+2+0+0+0], 0x0, s[32:33] // set 0 if K_idx >= sizeL
	;; [unrolled: 1-line block ×16, first 2 shown]
s_nop 1
v_mfma_f64_16x16x4_f64 a[0+0:7+0], v[vgprValuB_X3_I0+0+0+0:vgprValuB_X3_I0+0+0+0+1], v[vgprValuA_X3_I0+0+0+0:vgprValuA_X3_I0+0+0+0+1], a[0:7]
v_mfma_f64_16x16x4_f64 a[8+0:15+0], v[vgprValuB_X3_I0+0+0+0:vgprValuB_X3_I0+0+0+0+1], v[vgprValuA_X3_I0+2+0+0:vgprValuA_X3_I0+2+0+0+1], a[8:15]
	;; [unrolled: 1-line block ×16, first 2 shown]


/* closeLoop loopL finalLoop=1 tailLoop=1 */
s_sub_i32 s[sgprLoopCounterL], s[sgprLoopCounterL], 0x4 // dec counterL (tailLoop)
s_add_u32 s[sgprOrigLoopCounter], s[sgprOrigLoopCounter], 0x4 // inc counterL
s_cmp_le_i32 s[sgprLoopCounterL], 0x0              // counterL<=0
s_cbranch_scc0 TailLoopBeginL_6                    // restart LoopL
TailLoopEndL_7:

SkipTailLoopL_8:

Summation_End_30:
s_setprio 0                                        // optimization store
/* endSummation: add vgpr [0...122) to pool */
.set NumFullBlocks, UNDEF
.set WgmRemainder1, UNDEF
.set MagicNumberWgmRemainder1, UNDEF

/* Mapping of Acc register -> C Vgpr register */


/* shift vector components d1 */

v_mov_b32 v1, s[sgprWorkGroup1]                    // 
v_mul_i32_i24 v1, -0x80, v1                        // wg*MT
_v_add_co_u32 v1, vcc, s[sgprSizesFree+1], v1      // wgMT = Size - wg*MT
v_mov_b32 v2, 0x80                                 // MT
v_min_u32 v1, v2, v1                               // wgMT = (wgMT < MT) ? wgMT : MT
v_lshrrev_b32 v0, 6, v[vgprSerial]                 // v0 = v[vgprSerial] / 64
v_and_b32 v3, 3, v0                                // v3 = v0 % 4
v_lshrrev_b32 v0, 4, v1                            // v0 = v1 / 16
v_and_b32 v4, 3, v0                                // v4 = v0 % 4
v_cmp_eq_u32 s[32:33], v4, v3                      // wave_id == block_belong_to_wave?
v_cndmask_b32 v1, v2, v1, s[32:33]                 // wgMT = (wgMT < MT) ? wgMT : MT

/* mbReg: which mb block need to shift, mb(matrixInstCoal(16) * VectorWidth(1)) */
v_lshrrev_b32 v2, 2, v1                            // v2 = v1 / 4
v_lshlrev_b32 v4, 0x2, v3                          // v4 = v3 * 4
_v_sub_u32 v2, v2, v4                              // 

/* gbReg: glvw block id */
v_lshrrev_b32 v4, 1, v1                            // v4 = v1 / 2

/* tgbReg: glvw block id */
v_lshrrev_b32 v0, 4, v[vgprSerial]                 // v0 = v[vgprSerial] / 16
v_and_b32 v5, 3, v0                                // v5 = v0 % 4
                                                   // v5 = v5 * 1 (multiplier is 1, do nothing)
v_lshrrev_b32 v5, 1, v5                            // v5 = v5 / 2
v_lshlrev_b32 v3, 0x3, v3                          // v3 = v3 * 8
_v_add_co_u32 v5, vcc, v3, v5                      // tgbReg = (tid_coal * continOut) / GLVW
_v_sub_u32 v4, v4, v5                              // 

/* vwReg: glvw in which vw block? */
v_and_b32 v3, 0, v1                                // permute register between threads
v_lshrrev_b32 v3, 1, v3                            // permute register between threads

/* rReg : reminder of M_size % GlobalLoadVectorWidth */
v_and_b32 v5, 1, v1                                // v5 = v1 % 2
v_cmp_eq_u32 vcc, v5, 0x1                          // wgMT%VW == 1
s_cbranch_vccnz label_0031                         // branch to shift d1 r=1
s_branch label_0048                                // no shifting

/******************************************/
/* shift d1 r=1                           */
/******************************************/
label_0031:
v_cmp_eq_u32 vcc, v2, 0x0                          // 
s_cbranch_vccnz label_0032                         // branch to shift d1 r1 mb0
v_cmp_eq_u32 vcc, v2, 0x1                          // 
s_cbranch_vccnz label_0034                         // branch to shift d1 r1 mb1
v_cmp_eq_u32 vcc, v2, 0x2                          // 
s_cbranch_vccnz label_0036                         // branch to shift d1 r1 mb2
v_cmp_eq_u32 vcc, v2, 0x3                          // 
s_cbranch_vccnz label_0038                         // branch to shift d1 r1 mb3
v_cmp_eq_u32 vcc, v2, 0x10                         // 
s_cbranch_vccnz label_0040                         // branch to shift d1 r1 mb4
v_cmp_eq_u32 vcc, v2, 0x11                         // 
s_cbranch_vccnz label_0042                         // branch to shift d1 r1 mb5
v_cmp_eq_u32 vcc, v2, 0x12                         // 
s_cbranch_vccnz label_0044                         // branch to shift d1 r1 mb6
v_cmp_eq_u32 vcc, v2, 0x13                         // 
s_cbranch_vccnz label_0046                         // branch to shift d1 r1 mb7

/******************************************/
/* shift d1 r=1 mb=0                      */
/******************************************/
label_0032: // r1 mb0 
v_cmp_eq_u32 vcc, v3, 0x0                          // 
s_cbranch_vccnz label_0033                         // branch to shift d1 r1 mb0 vw0

/******************************************/
/* shift d1 r=1 mb=1                      */
/******************************************/
label_0034: // r1 mb1 
v_cmp_eq_u32 vcc, v3, 0x0                          // 
s_cbranch_vccnz label_0035                         // branch to shift d1 r1 mb1 vw0

/******************************************/
/* shift d1 r=1 mb=2                      */
/******************************************/
label_0036: // r1 mb2 
v_cmp_eq_u32 vcc, v3, 0x0                          // 
s_cbranch_vccnz label_0037                         // branch to shift d1 r1 mb2 vw0

/******************************************/
/* shift d1 r=1 mb=3                      */
/******************************************/
label_0038: // r1 mb3 
v_cmp_eq_u32 vcc, v3, 0x0                          // 
s_cbranch_vccnz label_0039                         // branch to shift d1 r1 mb3 vw0

/******************************************/
/* shift d1 r=1 mb=4                      */
/******************************************/
label_0040: // r1 mb4 
v_cmp_eq_u32 vcc, v3, 0x0                          // 
s_cbranch_vccnz label_0041                         // branch to shift d1 r1 mb4 vw0

/******************************************/
/* shift d1 r=1 mb=5                      */
/******************************************/
label_0042: // r1 mb5 
v_cmp_eq_u32 vcc, v3, 0x0                          // 
s_cbranch_vccnz label_0043                         // branch to shift d1 r1 mb5 vw0

/******************************************/
/* shift d1 r=1 mb=6                      */
/******************************************/
label_0044: // r1 mb6 
v_cmp_eq_u32 vcc, v3, 0x0                          // 
s_cbranch_vccnz label_0045                         // branch to shift d1 r1 mb6 vw0

/******************************************/
/* shift d1 r=1 mb=7                      */
/******************************************/
label_0046: // r1 mb7 
v_cmp_eq_u32 vcc, v3, 0x0                          // 
s_cbranch_vccnz label_0047                         // branch to shift d1 r1 mb7 vw0

/******************************************/
/* shift d1 r=1 mb=0 vw0                  */
/******************************************/
label_0033: // r1 mb0 vw0 
s_mov_b32 s32, 0                                   // 
_v_cmpx_eq_u32 s[32:33], v4, s32                   // is thread in edge glvw region
v_and_b32 v0, 63, v[vgprSerial]                    // permute register between threads
v_lshlrev_b32 v0, 2, v0                            // permute register between threads
v_accvgpr_read_b32 v5, acc0                        // glvw 1 mb 0 tt1 0 r 0
s_nop 1                                            // v_accvgpr read vgpr after write vgpr: 2 wait states
ds_bpermute_b32 v5, v0, v5, offset:64              // permute edge values
s_waitcnt 0                                        // wait for swizzle operation
v_accvgpr_write_b32 acc0, v5                       // 
v_accvgpr_read_b32 v5, acc1                        // glvw 1 mb 0 tt1 0 r 1
s_nop 1                                            // v_accvgpr read vgpr after write vgpr: 2 wait states
ds_bpermute_b32 v5, v0, v5, offset:64              // permute edge values
s_waitcnt 0                                        // wait for swizzle operation
v_accvgpr_write_b32 acc1, v5                       // 
v_accvgpr_read_b32 v5, acc8                        // glvw 1 mb 0 tt1 1 r 0
s_nop 1                                            // v_accvgpr read vgpr after write vgpr: 2 wait states
ds_bpermute_b32 v5, v0, v5, offset:64              // permute edge values
s_waitcnt 0                                        // wait for swizzle operation
v_accvgpr_write_b32 acc8, v5                       // 
v_accvgpr_read_b32 v5, acc9                        // glvw 1 mb 0 tt1 1 r 1
s_nop 1                                            // v_accvgpr read vgpr after write vgpr: 2 wait states
ds_bpermute_b32 v5, v0, v5, offset:64              // permute edge values
s_waitcnt 0                                        // wait for swizzle operation
v_accvgpr_write_b32 acc9, v5                       // 
v_accvgpr_read_b32 v5, acc16                       // glvw 1 mb 0 tt1 2 r 0
s_nop 1                                            // v_accvgpr read vgpr after write vgpr: 2 wait states
ds_bpermute_b32 v5, v0, v5, offset:64              // permute edge values
s_waitcnt 0                                        // wait for swizzle operation
v_accvgpr_write_b32 acc16, v5                      // 
v_accvgpr_read_b32 v5, acc17                       // glvw 1 mb 0 tt1 2 r 1
s_nop 1                                            // v_accvgpr read vgpr after write vgpr: 2 wait states
ds_bpermute_b32 v5, v0, v5, offset:64              // permute edge values
s_waitcnt 0                                        // wait for swizzle operation
v_accvgpr_write_b32 acc17, v5                      // 
v_accvgpr_read_b32 v5, acc24                       // glvw 1 mb 0 tt1 3 r 0
s_nop 1                                            // v_accvgpr read vgpr after write vgpr: 2 wait states
ds_bpermute_b32 v5, v0, v5, offset:64              // permute edge values
s_waitcnt 0                                        // wait for swizzle operation
v_accvgpr_write_b32 acc24, v5                      // 
v_accvgpr_read_b32 v5, acc25                       // glvw 1 mb 0 tt1 3 r 1
s_nop 1                                            // v_accvgpr read vgpr after write vgpr: 2 wait states
ds_bpermute_b32 v5, v0, v5, offset:64              // permute edge values
s_waitcnt 0                                        // wait for swizzle operation
v_accvgpr_write_b32 acc25, v5                      // 
v_accvgpr_read_b32 v5, acc32                       // glvw 1 mb 0 tt1 4 r 0
s_nop 1                                            // v_accvgpr read vgpr after write vgpr: 2 wait states
ds_bpermute_b32 v5, v0, v5, offset:64              // permute edge values
s_waitcnt 0                                        // wait for swizzle operation
v_accvgpr_write_b32 acc32, v5                      // 
v_accvgpr_read_b32 v5, acc33                       // glvw 1 mb 0 tt1 4 r 1
s_nop 1                                            // v_accvgpr read vgpr after write vgpr: 2 wait states
ds_bpermute_b32 v5, v0, v5, offset:64              // permute edge values
s_waitcnt 0                                        // wait for swizzle operation
v_accvgpr_write_b32 acc33, v5                      // 
v_accvgpr_read_b32 v5, acc40                       // glvw 1 mb 0 tt1 5 r 0
s_nop 1                                            // v_accvgpr read vgpr after write vgpr: 2 wait states
ds_bpermute_b32 v5, v0, v5, offset:64              // permute edge values
s_waitcnt 0                                        // wait for swizzle operation
v_accvgpr_write_b32 acc40, v5                      // 
v_accvgpr_read_b32 v5, acc41                       // glvw 1 mb 0 tt1 5 r 1
s_nop 1                                            // v_accvgpr read vgpr after write vgpr: 2 wait states
ds_bpermute_b32 v5, v0, v5, offset:64              // permute edge values
s_waitcnt 0                                        // wait for swizzle operation
v_accvgpr_write_b32 acc41, v5                      // 
v_accvgpr_read_b32 v5, acc48                       // glvw 1 mb 0 tt1 6 r 0
s_nop 1                                            // v_accvgpr read vgpr after write vgpr: 2 wait states
ds_bpermute_b32 v5, v0, v5, offset:64              // permute edge values
s_waitcnt 0                                        // wait for swizzle operation
v_accvgpr_write_b32 acc48, v5                      // 
v_accvgpr_read_b32 v5, acc49                       // glvw 1 mb 0 tt1 6 r 1
s_nop 1                                            // v_accvgpr read vgpr after write vgpr: 2 wait states
ds_bpermute_b32 v5, v0, v5, offset:64              // permute edge values
s_waitcnt 0                                        // wait for swizzle operation
v_accvgpr_write_b32 acc49, v5                      // 
v_accvgpr_read_b32 v5, acc56                       // glvw 1 mb 0 tt1 7 r 0
s_nop 1                                            // v_accvgpr read vgpr after write vgpr: 2 wait states
ds_bpermute_b32 v5, v0, v5, offset:64              // permute edge values
s_waitcnt 0                                        // wait for swizzle operation
v_accvgpr_write_b32 acc56, v5                      // 
v_accvgpr_read_b32 v5, acc57                       // glvw 1 mb 0 tt1 7 r 1
s_nop 1                                            // v_accvgpr read vgpr after write vgpr: 2 wait states
ds_bpermute_b32 v5, v0, v5, offset:64              // permute edge values
s_waitcnt 0                                        // wait for swizzle operation
v_accvgpr_write_b32 acc57, v5                      // 
s_mov_b64 s[32:33], 0xFFFFFFFFFFFFFFFF             // to restore all threads active
s_or_saveexec_b64 vcc, s[32:33]                    // all threads active
s_branch label_0048                                // done shifting


/******************************************/
/* shift d1 r=1 mb=1 vw0                  */
/******************************************/
label_0035: // r1 mb1 vw0 
s_mov_b32 s32, 2                                   // 
_v_cmpx_eq_u32 s[32:33], v4, s32                   // is thread in edge glvw region
v_and_b32 v0, 63, v[vgprSerial]                    // permute register between threads
v_lshlrev_b32 v0, 2, v0                            // permute register between threads
v_accvgpr_read_b32 v5, acc2                        // glvw 1 mb 1 tt1 0 r 0
s_nop 1                                            // v_accvgpr read vgpr after write vgpr: 2 wait states
ds_bpermute_b32 v5, v0, v5, offset:64              // permute edge values
s_waitcnt 0                                        // wait for swizzle operation
v_accvgpr_write_b32 acc2, v5                       // 
v_accvgpr_read_b32 v5, acc3                        // glvw 1 mb 1 tt1 0 r 1
s_nop 1                                            // v_accvgpr read vgpr after write vgpr: 2 wait states
ds_bpermute_b32 v5, v0, v5, offset:64              // permute edge values
s_waitcnt 0                                        // wait for swizzle operation
v_accvgpr_write_b32 acc3, v5                       // 
v_accvgpr_read_b32 v5, acc10                       // glvw 1 mb 1 tt1 1 r 0
s_nop 1                                            // v_accvgpr read vgpr after write vgpr: 2 wait states
ds_bpermute_b32 v5, v0, v5, offset:64              // permute edge values
s_waitcnt 0                                        // wait for swizzle operation
v_accvgpr_write_b32 acc10, v5                      // 
v_accvgpr_read_b32 v5, acc11                       // glvw 1 mb 1 tt1 1 r 1
s_nop 1                                            // v_accvgpr read vgpr after write vgpr: 2 wait states
ds_bpermute_b32 v5, v0, v5, offset:64              // permute edge values
s_waitcnt 0                                        // wait for swizzle operation
v_accvgpr_write_b32 acc11, v5                      // 
v_accvgpr_read_b32 v5, acc18                       // glvw 1 mb 1 tt1 2 r 0
s_nop 1                                            // v_accvgpr read vgpr after write vgpr: 2 wait states
ds_bpermute_b32 v5, v0, v5, offset:64              // permute edge values
s_waitcnt 0                                        // wait for swizzle operation
v_accvgpr_write_b32 acc18, v5                      // 
v_accvgpr_read_b32 v5, acc19                       // glvw 1 mb 1 tt1 2 r 1
s_nop 1                                            // v_accvgpr read vgpr after write vgpr: 2 wait states
ds_bpermute_b32 v5, v0, v5, offset:64              // permute edge values
s_waitcnt 0                                        // wait for swizzle operation
v_accvgpr_write_b32 acc19, v5                      // 
v_accvgpr_read_b32 v5, acc26                       // glvw 1 mb 1 tt1 3 r 0
s_nop 1                                            // v_accvgpr read vgpr after write vgpr: 2 wait states
ds_bpermute_b32 v5, v0, v5, offset:64              // permute edge values
s_waitcnt 0                                        // wait for swizzle operation
v_accvgpr_write_b32 acc26, v5                      // 
v_accvgpr_read_b32 v5, acc27                       // glvw 1 mb 1 tt1 3 r 1
s_nop 1                                            // v_accvgpr read vgpr after write vgpr: 2 wait states
ds_bpermute_b32 v5, v0, v5, offset:64              // permute edge values
s_waitcnt 0                                        // wait for swizzle operation
v_accvgpr_write_b32 acc27, v5                      // 
v_accvgpr_read_b32 v5, acc34                       // glvw 1 mb 1 tt1 4 r 0
s_nop 1                                            // v_accvgpr read vgpr after write vgpr: 2 wait states
ds_bpermute_b32 v5, v0, v5, offset:64              // permute edge values
s_waitcnt 0                                        // wait for swizzle operation
v_accvgpr_write_b32 acc34, v5                      // 
v_accvgpr_read_b32 v5, acc35                       // glvw 1 mb 1 tt1 4 r 1
s_nop 1                                            // v_accvgpr read vgpr after write vgpr: 2 wait states
ds_bpermute_b32 v5, v0, v5, offset:64              // permute edge values
s_waitcnt 0                                        // wait for swizzle operation
v_accvgpr_write_b32 acc35, v5                      // 
v_accvgpr_read_b32 v5, acc42                       // glvw 1 mb 1 tt1 5 r 0
s_nop 1                                            // v_accvgpr read vgpr after write vgpr: 2 wait states
ds_bpermute_b32 v5, v0, v5, offset:64              // permute edge values
s_waitcnt 0                                        // wait for swizzle operation
v_accvgpr_write_b32 acc42, v5                      // 
v_accvgpr_read_b32 v5, acc43                       // glvw 1 mb 1 tt1 5 r 1
s_nop 1                                            // v_accvgpr read vgpr after write vgpr: 2 wait states
ds_bpermute_b32 v5, v0, v5, offset:64              // permute edge values
s_waitcnt 0                                        // wait for swizzle operation
v_accvgpr_write_b32 acc43, v5                      // 
v_accvgpr_read_b32 v5, acc50                       // glvw 1 mb 1 tt1 6 r 0
s_nop 1                                            // v_accvgpr read vgpr after write vgpr: 2 wait states
ds_bpermute_b32 v5, v0, v5, offset:64              // permute edge values
s_waitcnt 0                                        // wait for swizzle operation
v_accvgpr_write_b32 acc50, v5                      // 
v_accvgpr_read_b32 v5, acc51                       // glvw 1 mb 1 tt1 6 r 1
s_nop 1                                            // v_accvgpr read vgpr after write vgpr: 2 wait states
ds_bpermute_b32 v5, v0, v5, offset:64              // permute edge values
s_waitcnt 0                                        // wait for swizzle operation
v_accvgpr_write_b32 acc51, v5                      // 
v_accvgpr_read_b32 v5, acc58                       // glvw 1 mb 1 tt1 7 r 0
s_nop 1                                            // v_accvgpr read vgpr after write vgpr: 2 wait states
ds_bpermute_b32 v5, v0, v5, offset:64              // permute edge values
s_waitcnt 0                                        // wait for swizzle operation
v_accvgpr_write_b32 acc58, v5                      // 
v_accvgpr_read_b32 v5, acc59                       // glvw 1 mb 1 tt1 7 r 1
s_nop 1                                            // v_accvgpr read vgpr after write vgpr: 2 wait states
ds_bpermute_b32 v5, v0, v5, offset:64              // permute edge values
s_waitcnt 0                                        // wait for swizzle operation
v_accvgpr_write_b32 acc59, v5                      // 
s_mov_b64 s[32:33], 0xFFFFFFFFFFFFFFFF             // to restore all threads active
s_or_saveexec_b64 vcc, s[32:33]                    // all threads active
s_branch label_0048                                // done shifting


/******************************************/
/* shift d1 r=1 mb=2 vw0                  */
/******************************************/
label_0037: // r1 mb2 vw0 
s_mov_b32 s32, 4                                   // 
_v_cmpx_eq_u32 s[32:33], v4, s32                   // is thread in edge glvw region
v_and_b32 v0, 63, v[vgprSerial]                    // permute register between threads
v_lshlrev_b32 v0, 2, v0                            // permute register between threads
v_accvgpr_read_b32 v5, acc4                        // glvw 1 mb 2 tt1 0 r 0
s_nop 1                                            // v_accvgpr read vgpr after write vgpr: 2 wait states
ds_bpermute_b32 v5, v0, v5, offset:64              // permute edge values
s_waitcnt 0                                        // wait for swizzle operation
v_accvgpr_write_b32 acc4, v5                       // 
v_accvgpr_read_b32 v5, acc5                        // glvw 1 mb 2 tt1 0 r 1
s_nop 1                                            // v_accvgpr read vgpr after write vgpr: 2 wait states
ds_bpermute_b32 v5, v0, v5, offset:64              // permute edge values
s_waitcnt 0                                        // wait for swizzle operation
v_accvgpr_write_b32 acc5, v5                       // 
v_accvgpr_read_b32 v5, acc12                       // glvw 1 mb 2 tt1 1 r 0
s_nop 1                                            // v_accvgpr read vgpr after write vgpr: 2 wait states
ds_bpermute_b32 v5, v0, v5, offset:64              // permute edge values
s_waitcnt 0                                        // wait for swizzle operation
v_accvgpr_write_b32 acc12, v5                      // 
v_accvgpr_read_b32 v5, acc13                       // glvw 1 mb 2 tt1 1 r 1
s_nop 1                                            // v_accvgpr read vgpr after write vgpr: 2 wait states
ds_bpermute_b32 v5, v0, v5, offset:64              // permute edge values
s_waitcnt 0                                        // wait for swizzle operation
v_accvgpr_write_b32 acc13, v5                      // 
v_accvgpr_read_b32 v5, acc20                       // glvw 1 mb 2 tt1 2 r 0
s_nop 1                                            // v_accvgpr read vgpr after write vgpr: 2 wait states
ds_bpermute_b32 v5, v0, v5, offset:64              // permute edge values
s_waitcnt 0                                        // wait for swizzle operation
v_accvgpr_write_b32 acc20, v5                      // 
v_accvgpr_read_b32 v5, acc21                       // glvw 1 mb 2 tt1 2 r 1
s_nop 1                                            // v_accvgpr read vgpr after write vgpr: 2 wait states
ds_bpermute_b32 v5, v0, v5, offset:64              // permute edge values
s_waitcnt 0                                        // wait for swizzle operation
v_accvgpr_write_b32 acc21, v5                      // 
v_accvgpr_read_b32 v5, acc28                       // glvw 1 mb 2 tt1 3 r 0
s_nop 1                                            // v_accvgpr read vgpr after write vgpr: 2 wait states
ds_bpermute_b32 v5, v0, v5, offset:64              // permute edge values
s_waitcnt 0                                        // wait for swizzle operation
v_accvgpr_write_b32 acc28, v5                      // 
v_accvgpr_read_b32 v5, acc29                       // glvw 1 mb 2 tt1 3 r 1
s_nop 1                                            // v_accvgpr read vgpr after write vgpr: 2 wait states
ds_bpermute_b32 v5, v0, v5, offset:64              // permute edge values
s_waitcnt 0                                        // wait for swizzle operation
v_accvgpr_write_b32 acc29, v5                      // 
v_accvgpr_read_b32 v5, acc36                       // glvw 1 mb 2 tt1 4 r 0
s_nop 1                                            // v_accvgpr read vgpr after write vgpr: 2 wait states
ds_bpermute_b32 v5, v0, v5, offset:64              // permute edge values
s_waitcnt 0                                        // wait for swizzle operation
v_accvgpr_write_b32 acc36, v5                      // 
v_accvgpr_read_b32 v5, acc37                       // glvw 1 mb 2 tt1 4 r 1
s_nop 1                                            // v_accvgpr read vgpr after write vgpr: 2 wait states
ds_bpermute_b32 v5, v0, v5, offset:64              // permute edge values
s_waitcnt 0                                        // wait for swizzle operation
v_accvgpr_write_b32 acc37, v5                      // 
v_accvgpr_read_b32 v5, acc44                       // glvw 1 mb 2 tt1 5 r 0
s_nop 1                                            // v_accvgpr read vgpr after write vgpr: 2 wait states
ds_bpermute_b32 v5, v0, v5, offset:64              // permute edge values
s_waitcnt 0                                        // wait for swizzle operation
v_accvgpr_write_b32 acc44, v5                      // 
v_accvgpr_read_b32 v5, acc45                       // glvw 1 mb 2 tt1 5 r 1
s_nop 1                                            // v_accvgpr read vgpr after write vgpr: 2 wait states
ds_bpermute_b32 v5, v0, v5, offset:64              // permute edge values
s_waitcnt 0                                        // wait for swizzle operation
v_accvgpr_write_b32 acc45, v5                      // 
v_accvgpr_read_b32 v5, acc52                       // glvw 1 mb 2 tt1 6 r 0
s_nop 1                                            // v_accvgpr read vgpr after write vgpr: 2 wait states
ds_bpermute_b32 v5, v0, v5, offset:64              // permute edge values
s_waitcnt 0                                        // wait for swizzle operation
v_accvgpr_write_b32 acc52, v5                      // 
v_accvgpr_read_b32 v5, acc53                       // glvw 1 mb 2 tt1 6 r 1
s_nop 1                                            // v_accvgpr read vgpr after write vgpr: 2 wait states
ds_bpermute_b32 v5, v0, v5, offset:64              // permute edge values
s_waitcnt 0                                        // wait for swizzle operation
v_accvgpr_write_b32 acc53, v5                      // 
v_accvgpr_read_b32 v5, acc60                       // glvw 1 mb 2 tt1 7 r 0
s_nop 1                                            // v_accvgpr read vgpr after write vgpr: 2 wait states
ds_bpermute_b32 v5, v0, v5, offset:64              // permute edge values
s_waitcnt 0                                        // wait for swizzle operation
v_accvgpr_write_b32 acc60, v5                      // 
v_accvgpr_read_b32 v5, acc61                       // glvw 1 mb 2 tt1 7 r 1
s_nop 1                                            // v_accvgpr read vgpr after write vgpr: 2 wait states
ds_bpermute_b32 v5, v0, v5, offset:64              // permute edge values
s_waitcnt 0                                        // wait for swizzle operation
v_accvgpr_write_b32 acc61, v5                      // 
s_mov_b64 s[32:33], 0xFFFFFFFFFFFFFFFF             // to restore all threads active
s_or_saveexec_b64 vcc, s[32:33]                    // all threads active
s_branch label_0048                                // done shifting


/******************************************/
/* shift d1 r=1 mb=3 vw0                  */
/******************************************/
label_0039: // r1 mb3 vw0 
s_mov_b32 s32, 6                                   // 
_v_cmpx_eq_u32 s[32:33], v4, s32                   // is thread in edge glvw region
v_and_b32 v0, 63, v[vgprSerial]                    // permute register between threads
v_lshlrev_b32 v0, 2, v0                            // permute register between threads
v_accvgpr_read_b32 v5, acc6                        // glvw 1 mb 3 tt1 0 r 0
s_nop 1                                            // v_accvgpr read vgpr after write vgpr: 2 wait states
ds_bpermute_b32 v5, v0, v5, offset:64              // permute edge values
s_waitcnt 0                                        // wait for swizzle operation
v_accvgpr_write_b32 acc6, v5                       // 
v_accvgpr_read_b32 v5, acc7                        // glvw 1 mb 3 tt1 0 r 1
s_nop 1                                            // v_accvgpr read vgpr after write vgpr: 2 wait states
ds_bpermute_b32 v5, v0, v5, offset:64              // permute edge values
s_waitcnt 0                                        // wait for swizzle operation
v_accvgpr_write_b32 acc7, v5                       // 
v_accvgpr_read_b32 v5, acc14                       // glvw 1 mb 3 tt1 1 r 0
s_nop 1                                            // v_accvgpr read vgpr after write vgpr: 2 wait states
ds_bpermute_b32 v5, v0, v5, offset:64              // permute edge values
s_waitcnt 0                                        // wait for swizzle operation
v_accvgpr_write_b32 acc14, v5                      // 
v_accvgpr_read_b32 v5, acc15                       // glvw 1 mb 3 tt1 1 r 1
s_nop 1                                            // v_accvgpr read vgpr after write vgpr: 2 wait states
ds_bpermute_b32 v5, v0, v5, offset:64              // permute edge values
s_waitcnt 0                                        // wait for swizzle operation
v_accvgpr_write_b32 acc15, v5                      // 
v_accvgpr_read_b32 v5, acc22                       // glvw 1 mb 3 tt1 2 r 0
s_nop 1                                            // v_accvgpr read vgpr after write vgpr: 2 wait states
ds_bpermute_b32 v5, v0, v5, offset:64              // permute edge values
s_waitcnt 0                                        // wait for swizzle operation
v_accvgpr_write_b32 acc22, v5                      // 
v_accvgpr_read_b32 v5, acc23                       // glvw 1 mb 3 tt1 2 r 1
s_nop 1                                            // v_accvgpr read vgpr after write vgpr: 2 wait states
ds_bpermute_b32 v5, v0, v5, offset:64              // permute edge values
s_waitcnt 0                                        // wait for swizzle operation
v_accvgpr_write_b32 acc23, v5                      // 
v_accvgpr_read_b32 v5, acc30                       // glvw 1 mb 3 tt1 3 r 0
s_nop 1                                            // v_accvgpr read vgpr after write vgpr: 2 wait states
ds_bpermute_b32 v5, v0, v5, offset:64              // permute edge values
s_waitcnt 0                                        // wait for swizzle operation
v_accvgpr_write_b32 acc30, v5                      // 
v_accvgpr_read_b32 v5, acc31                       // glvw 1 mb 3 tt1 3 r 1
s_nop 1                                            // v_accvgpr read vgpr after write vgpr: 2 wait states
ds_bpermute_b32 v5, v0, v5, offset:64              // permute edge values
s_waitcnt 0                                        // wait for swizzle operation
v_accvgpr_write_b32 acc31, v5                      // 
v_accvgpr_read_b32 v5, acc38                       // glvw 1 mb 3 tt1 4 r 0
s_nop 1                                            // v_accvgpr read vgpr after write vgpr: 2 wait states
ds_bpermute_b32 v5, v0, v5, offset:64              // permute edge values
s_waitcnt 0                                        // wait for swizzle operation
v_accvgpr_write_b32 acc38, v5                      // 
v_accvgpr_read_b32 v5, acc39                       // glvw 1 mb 3 tt1 4 r 1
s_nop 1                                            // v_accvgpr read vgpr after write vgpr: 2 wait states
ds_bpermute_b32 v5, v0, v5, offset:64              // permute edge values
s_waitcnt 0                                        // wait for swizzle operation
v_accvgpr_write_b32 acc39, v5                      // 
v_accvgpr_read_b32 v5, acc46                       // glvw 1 mb 3 tt1 5 r 0
s_nop 1                                            // v_accvgpr read vgpr after write vgpr: 2 wait states
ds_bpermute_b32 v5, v0, v5, offset:64              // permute edge values
s_waitcnt 0                                        // wait for swizzle operation
v_accvgpr_write_b32 acc46, v5                      // 
v_accvgpr_read_b32 v5, acc47                       // glvw 1 mb 3 tt1 5 r 1
s_nop 1                                            // v_accvgpr read vgpr after write vgpr: 2 wait states
ds_bpermute_b32 v5, v0, v5, offset:64              // permute edge values
s_waitcnt 0                                        // wait for swizzle operation
v_accvgpr_write_b32 acc47, v5                      // 
v_accvgpr_read_b32 v5, acc54                       // glvw 1 mb 3 tt1 6 r 0
s_nop 1                                            // v_accvgpr read vgpr after write vgpr: 2 wait states
ds_bpermute_b32 v5, v0, v5, offset:64              // permute edge values
s_waitcnt 0                                        // wait for swizzle operation
v_accvgpr_write_b32 acc54, v5                      // 
v_accvgpr_read_b32 v5, acc55                       // glvw 1 mb 3 tt1 6 r 1
s_nop 1                                            // v_accvgpr read vgpr after write vgpr: 2 wait states
ds_bpermute_b32 v5, v0, v5, offset:64              // permute edge values
s_waitcnt 0                                        // wait for swizzle operation
v_accvgpr_write_b32 acc55, v5                      // 
v_accvgpr_read_b32 v5, acc62                       // glvw 1 mb 3 tt1 7 r 0
s_nop 1                                            // v_accvgpr read vgpr after write vgpr: 2 wait states
ds_bpermute_b32 v5, v0, v5, offset:64              // permute edge values
s_waitcnt 0                                        // wait for swizzle operation
v_accvgpr_write_b32 acc62, v5                      // 
v_accvgpr_read_b32 v5, acc63                       // glvw 1 mb 3 tt1 7 r 1
s_nop 1                                            // v_accvgpr read vgpr after write vgpr: 2 wait states
ds_bpermute_b32 v5, v0, v5, offset:64              // permute edge values
s_waitcnt 0                                        // wait for swizzle operation
v_accvgpr_write_b32 acc63, v5                      // 
s_mov_b64 s[32:33], 0xFFFFFFFFFFFFFFFF             // to restore all threads active
s_or_saveexec_b64 vcc, s[32:33]                    // all threads active
s_branch label_0048                                // done shifting


/******************************************/
/* shift d1 r=1 mb=4 vw0                  */
/******************************************/
label_0041: // r1 mb4 vw0 
s_mov_b32 s32, 32                                  // 
_v_cmpx_eq_u32 s[32:33], v4, s32                   // is thread in edge glvw region
v_and_b32 v0, 63, v[vgprSerial]                    // permute register between threads
v_lshlrev_b32 v0, 2, v0                            // permute register between threads
v_accvgpr_read_b32 v5, acc64                       // glvw 1 mb 4 tt1 0 r 0
s_nop 1                                            // v_accvgpr read vgpr after write vgpr: 2 wait states
ds_bpermute_b32 v5, v0, v5, offset:64              // permute edge values
s_waitcnt 0                                        // wait for swizzle operation
v_accvgpr_write_b32 acc64, v5                      // 
v_accvgpr_read_b32 v5, acc65                       // glvw 1 mb 4 tt1 0 r 1
s_nop 1                                            // v_accvgpr read vgpr after write vgpr: 2 wait states
ds_bpermute_b32 v5, v0, v5, offset:64              // permute edge values
s_waitcnt 0                                        // wait for swizzle operation
v_accvgpr_write_b32 acc65, v5                      // 
v_accvgpr_read_b32 v5, acc72                       // glvw 1 mb 4 tt1 1 r 0
s_nop 1                                            // v_accvgpr read vgpr after write vgpr: 2 wait states
ds_bpermute_b32 v5, v0, v5, offset:64              // permute edge values
s_waitcnt 0                                        // wait for swizzle operation
v_accvgpr_write_b32 acc72, v5                      // 
v_accvgpr_read_b32 v5, acc73                       // glvw 1 mb 4 tt1 1 r 1
s_nop 1                                            // v_accvgpr read vgpr after write vgpr: 2 wait states
ds_bpermute_b32 v5, v0, v5, offset:64              // permute edge values
s_waitcnt 0                                        // wait for swizzle operation
v_accvgpr_write_b32 acc73, v5                      // 
v_accvgpr_read_b32 v5, acc80                       // glvw 1 mb 4 tt1 2 r 0
s_nop 1                                            // v_accvgpr read vgpr after write vgpr: 2 wait states
ds_bpermute_b32 v5, v0, v5, offset:64              // permute edge values
s_waitcnt 0                                        // wait for swizzle operation
v_accvgpr_write_b32 acc80, v5                      // 
v_accvgpr_read_b32 v5, acc81                       // glvw 1 mb 4 tt1 2 r 1
s_nop 1                                            // v_accvgpr read vgpr after write vgpr: 2 wait states
ds_bpermute_b32 v5, v0, v5, offset:64              // permute edge values
s_waitcnt 0                                        // wait for swizzle operation
v_accvgpr_write_b32 acc81, v5                      // 
v_accvgpr_read_b32 v5, acc88                       // glvw 1 mb 4 tt1 3 r 0
s_nop 1                                            // v_accvgpr read vgpr after write vgpr: 2 wait states
ds_bpermute_b32 v5, v0, v5, offset:64              // permute edge values
s_waitcnt 0                                        // wait for swizzle operation
v_accvgpr_write_b32 acc88, v5                      // 
v_accvgpr_read_b32 v5, acc89                       // glvw 1 mb 4 tt1 3 r 1
s_nop 1                                            // v_accvgpr read vgpr after write vgpr: 2 wait states
ds_bpermute_b32 v5, v0, v5, offset:64              // permute edge values
s_waitcnt 0                                        // wait for swizzle operation
v_accvgpr_write_b32 acc89, v5                      // 
v_accvgpr_read_b32 v5, acc96                       // glvw 1 mb 4 tt1 4 r 0
s_nop 1                                            // v_accvgpr read vgpr after write vgpr: 2 wait states
ds_bpermute_b32 v5, v0, v5, offset:64              // permute edge values
s_waitcnt 0                                        // wait for swizzle operation
v_accvgpr_write_b32 acc96, v5                      // 
v_accvgpr_read_b32 v5, acc97                       // glvw 1 mb 4 tt1 4 r 1
s_nop 1                                            // v_accvgpr read vgpr after write vgpr: 2 wait states
ds_bpermute_b32 v5, v0, v5, offset:64              // permute edge values
s_waitcnt 0                                        // wait for swizzle operation
v_accvgpr_write_b32 acc97, v5                      // 
v_accvgpr_read_b32 v5, acc104                      // glvw 1 mb 4 tt1 5 r 0
s_nop 1                                            // v_accvgpr read vgpr after write vgpr: 2 wait states
ds_bpermute_b32 v5, v0, v5, offset:64              // permute edge values
s_waitcnt 0                                        // wait for swizzle operation
v_accvgpr_write_b32 acc104, v5                     // 
v_accvgpr_read_b32 v5, acc105                      // glvw 1 mb 4 tt1 5 r 1
s_nop 1                                            // v_accvgpr read vgpr after write vgpr: 2 wait states
ds_bpermute_b32 v5, v0, v5, offset:64              // permute edge values
s_waitcnt 0                                        // wait for swizzle operation
v_accvgpr_write_b32 acc105, v5                     // 
v_accvgpr_read_b32 v5, acc112                      // glvw 1 mb 4 tt1 6 r 0
s_nop 1                                            // v_accvgpr read vgpr after write vgpr: 2 wait states
ds_bpermute_b32 v5, v0, v5, offset:64              // permute edge values
s_waitcnt 0                                        // wait for swizzle operation
v_accvgpr_write_b32 acc112, v5                     // 
v_accvgpr_read_b32 v5, acc113                      // glvw 1 mb 4 tt1 6 r 1
s_nop 1                                            // v_accvgpr read vgpr after write vgpr: 2 wait states
ds_bpermute_b32 v5, v0, v5, offset:64              // permute edge values
s_waitcnt 0                                        // wait for swizzle operation
v_accvgpr_write_b32 acc113, v5                     // 
v_accvgpr_read_b32 v5, acc120                      // glvw 1 mb 4 tt1 7 r 0
s_nop 1                                            // v_accvgpr read vgpr after write vgpr: 2 wait states
ds_bpermute_b32 v5, v0, v5, offset:64              // permute edge values
s_waitcnt 0                                        // wait for swizzle operation
v_accvgpr_write_b32 acc120, v5                     // 
v_accvgpr_read_b32 v5, acc121                      // glvw 1 mb 4 tt1 7 r 1
s_nop 1                                            // v_accvgpr read vgpr after write vgpr: 2 wait states
ds_bpermute_b32 v5, v0, v5, offset:64              // permute edge values
s_waitcnt 0                                        // wait for swizzle operation
v_accvgpr_write_b32 acc121, v5                     // 
s_mov_b64 s[32:33], 0xFFFFFFFFFFFFFFFF             // to restore all threads active
s_or_saveexec_b64 vcc, s[32:33]                    // all threads active
s_branch label_0048                                // done shifting


/******************************************/
/* shift d1 r=1 mb=5 vw0                  */
/******************************************/
label_0043: // r1 mb5 vw0 
s_mov_b32 s32, 34                                  // 
_v_cmpx_eq_u32 s[32:33], v4, s32                   // is thread in edge glvw region
v_and_b32 v0, 63, v[vgprSerial]                    // permute register between threads
v_lshlrev_b32 v0, 2, v0                            // permute register between threads
v_accvgpr_read_b32 v5, acc66                       // glvw 1 mb 5 tt1 0 r 0
s_nop 1                                            // v_accvgpr read vgpr after write vgpr: 2 wait states
ds_bpermute_b32 v5, v0, v5, offset:64              // permute edge values
s_waitcnt 0                                        // wait for swizzle operation
v_accvgpr_write_b32 acc66, v5                      // 
v_accvgpr_read_b32 v5, acc67                       // glvw 1 mb 5 tt1 0 r 1
s_nop 1                                            // v_accvgpr read vgpr after write vgpr: 2 wait states
ds_bpermute_b32 v5, v0, v5, offset:64              // permute edge values
s_waitcnt 0                                        // wait for swizzle operation
v_accvgpr_write_b32 acc67, v5                      // 
v_accvgpr_read_b32 v5, acc74                       // glvw 1 mb 5 tt1 1 r 0
s_nop 1                                            // v_accvgpr read vgpr after write vgpr: 2 wait states
ds_bpermute_b32 v5, v0, v5, offset:64              // permute edge values
s_waitcnt 0                                        // wait for swizzle operation
v_accvgpr_write_b32 acc74, v5                      // 
v_accvgpr_read_b32 v5, acc75                       // glvw 1 mb 5 tt1 1 r 1
s_nop 1                                            // v_accvgpr read vgpr after write vgpr: 2 wait states
ds_bpermute_b32 v5, v0, v5, offset:64              // permute edge values
s_waitcnt 0                                        // wait for swizzle operation
v_accvgpr_write_b32 acc75, v5                      // 
v_accvgpr_read_b32 v5, acc82                       // glvw 1 mb 5 tt1 2 r 0
s_nop 1                                            // v_accvgpr read vgpr after write vgpr: 2 wait states
ds_bpermute_b32 v5, v0, v5, offset:64              // permute edge values
s_waitcnt 0                                        // wait for swizzle operation
v_accvgpr_write_b32 acc82, v5                      // 
v_accvgpr_read_b32 v5, acc83                       // glvw 1 mb 5 tt1 2 r 1
s_nop 1                                            // v_accvgpr read vgpr after write vgpr: 2 wait states
ds_bpermute_b32 v5, v0, v5, offset:64              // permute edge values
s_waitcnt 0                                        // wait for swizzle operation
v_accvgpr_write_b32 acc83, v5                      // 
v_accvgpr_read_b32 v5, acc90                       // glvw 1 mb 5 tt1 3 r 0
s_nop 1                                            // v_accvgpr read vgpr after write vgpr: 2 wait states
ds_bpermute_b32 v5, v0, v5, offset:64              // permute edge values
s_waitcnt 0                                        // wait for swizzle operation
v_accvgpr_write_b32 acc90, v5                      // 
v_accvgpr_read_b32 v5, acc91                       // glvw 1 mb 5 tt1 3 r 1
s_nop 1                                            // v_accvgpr read vgpr after write vgpr: 2 wait states
ds_bpermute_b32 v5, v0, v5, offset:64              // permute edge values
s_waitcnt 0                                        // wait for swizzle operation
v_accvgpr_write_b32 acc91, v5                      // 
v_accvgpr_read_b32 v5, acc98                       // glvw 1 mb 5 tt1 4 r 0
s_nop 1                                            // v_accvgpr read vgpr after write vgpr: 2 wait states
ds_bpermute_b32 v5, v0, v5, offset:64              // permute edge values
s_waitcnt 0                                        // wait for swizzle operation
v_accvgpr_write_b32 acc98, v5                      // 
v_accvgpr_read_b32 v5, acc99                       // glvw 1 mb 5 tt1 4 r 1
s_nop 1                                            // v_accvgpr read vgpr after write vgpr: 2 wait states
ds_bpermute_b32 v5, v0, v5, offset:64              // permute edge values
s_waitcnt 0                                        // wait for swizzle operation
v_accvgpr_write_b32 acc99, v5                      // 
v_accvgpr_read_b32 v5, acc106                      // glvw 1 mb 5 tt1 5 r 0
s_nop 1                                            // v_accvgpr read vgpr after write vgpr: 2 wait states
ds_bpermute_b32 v5, v0, v5, offset:64              // permute edge values
s_waitcnt 0                                        // wait for swizzle operation
v_accvgpr_write_b32 acc106, v5                     // 
v_accvgpr_read_b32 v5, acc107                      // glvw 1 mb 5 tt1 5 r 1
s_nop 1                                            // v_accvgpr read vgpr after write vgpr: 2 wait states
ds_bpermute_b32 v5, v0, v5, offset:64              // permute edge values
s_waitcnt 0                                        // wait for swizzle operation
v_accvgpr_write_b32 acc107, v5                     // 
v_accvgpr_read_b32 v5, acc114                      // glvw 1 mb 5 tt1 6 r 0
s_nop 1                                            // v_accvgpr read vgpr after write vgpr: 2 wait states
ds_bpermute_b32 v5, v0, v5, offset:64              // permute edge values
s_waitcnt 0                                        // wait for swizzle operation
v_accvgpr_write_b32 acc114, v5                     // 
v_accvgpr_read_b32 v5, acc115                      // glvw 1 mb 5 tt1 6 r 1
s_nop 1                                            // v_accvgpr read vgpr after write vgpr: 2 wait states
ds_bpermute_b32 v5, v0, v5, offset:64              // permute edge values
s_waitcnt 0                                        // wait for swizzle operation
v_accvgpr_write_b32 acc115, v5                     // 
v_accvgpr_read_b32 v5, acc122                      // glvw 1 mb 5 tt1 7 r 0
s_nop 1                                            // v_accvgpr read vgpr after write vgpr: 2 wait states
ds_bpermute_b32 v5, v0, v5, offset:64              // permute edge values
s_waitcnt 0                                        // wait for swizzle operation
v_accvgpr_write_b32 acc122, v5                     // 
v_accvgpr_read_b32 v5, acc123                      // glvw 1 mb 5 tt1 7 r 1
s_nop 1                                            // v_accvgpr read vgpr after write vgpr: 2 wait states
ds_bpermute_b32 v5, v0, v5, offset:64              // permute edge values
s_waitcnt 0                                        // wait for swizzle operation
v_accvgpr_write_b32 acc123, v5                     // 
s_mov_b64 s[32:33], 0xFFFFFFFFFFFFFFFF             // to restore all threads active
s_or_saveexec_b64 vcc, s[32:33]                    // all threads active
s_branch label_0048                                // done shifting


/******************************************/
/* shift d1 r=1 mb=6 vw0                  */
/******************************************/
label_0045: // r1 mb6 vw0 
s_mov_b32 s32, 36                                  // 
_v_cmpx_eq_u32 s[32:33], v4, s32                   // is thread in edge glvw region
v_and_b32 v0, 63, v[vgprSerial]                    // permute register between threads
v_lshlrev_b32 v0, 2, v0                            // permute register between threads
v_accvgpr_read_b32 v5, acc68                       // glvw 1 mb 6 tt1 0 r 0
s_nop 1                                            // v_accvgpr read vgpr after write vgpr: 2 wait states
ds_bpermute_b32 v5, v0, v5, offset:64              // permute edge values
s_waitcnt 0                                        // wait for swizzle operation
v_accvgpr_write_b32 acc68, v5                      // 
v_accvgpr_read_b32 v5, acc69                       // glvw 1 mb 6 tt1 0 r 1
s_nop 1                                            // v_accvgpr read vgpr after write vgpr: 2 wait states
ds_bpermute_b32 v5, v0, v5, offset:64              // permute edge values
s_waitcnt 0                                        // wait for swizzle operation
v_accvgpr_write_b32 acc69, v5                      // 
v_accvgpr_read_b32 v5, acc76                       // glvw 1 mb 6 tt1 1 r 0
s_nop 1                                            // v_accvgpr read vgpr after write vgpr: 2 wait states
ds_bpermute_b32 v5, v0, v5, offset:64              // permute edge values
s_waitcnt 0                                        // wait for swizzle operation
v_accvgpr_write_b32 acc76, v5                      // 
v_accvgpr_read_b32 v5, acc77                       // glvw 1 mb 6 tt1 1 r 1
s_nop 1                                            // v_accvgpr read vgpr after write vgpr: 2 wait states
ds_bpermute_b32 v5, v0, v5, offset:64              // permute edge values
s_waitcnt 0                                        // wait for swizzle operation
v_accvgpr_write_b32 acc77, v5                      // 
v_accvgpr_read_b32 v5, acc84                       // glvw 1 mb 6 tt1 2 r 0
s_nop 1                                            // v_accvgpr read vgpr after write vgpr: 2 wait states
ds_bpermute_b32 v5, v0, v5, offset:64              // permute edge values
s_waitcnt 0                                        // wait for swizzle operation
v_accvgpr_write_b32 acc84, v5                      // 
v_accvgpr_read_b32 v5, acc85                       // glvw 1 mb 6 tt1 2 r 1
s_nop 1                                            // v_accvgpr read vgpr after write vgpr: 2 wait states
ds_bpermute_b32 v5, v0, v5, offset:64              // permute edge values
s_waitcnt 0                                        // wait for swizzle operation
v_accvgpr_write_b32 acc85, v5                      // 
v_accvgpr_read_b32 v5, acc92                       // glvw 1 mb 6 tt1 3 r 0
s_nop 1                                            // v_accvgpr read vgpr after write vgpr: 2 wait states
ds_bpermute_b32 v5, v0, v5, offset:64              // permute edge values
s_waitcnt 0                                        // wait for swizzle operation
v_accvgpr_write_b32 acc92, v5                      // 
v_accvgpr_read_b32 v5, acc93                       // glvw 1 mb 6 tt1 3 r 1
s_nop 1                                            // v_accvgpr read vgpr after write vgpr: 2 wait states
ds_bpermute_b32 v5, v0, v5, offset:64              // permute edge values
s_waitcnt 0                                        // wait for swizzle operation
v_accvgpr_write_b32 acc93, v5                      // 
v_accvgpr_read_b32 v5, acc100                      // glvw 1 mb 6 tt1 4 r 0
s_nop 1                                            // v_accvgpr read vgpr after write vgpr: 2 wait states
ds_bpermute_b32 v5, v0, v5, offset:64              // permute edge values
s_waitcnt 0                                        // wait for swizzle operation
v_accvgpr_write_b32 acc100, v5                     // 
v_accvgpr_read_b32 v5, acc101                      // glvw 1 mb 6 tt1 4 r 1
s_nop 1                                            // v_accvgpr read vgpr after write vgpr: 2 wait states
ds_bpermute_b32 v5, v0, v5, offset:64              // permute edge values
s_waitcnt 0                                        // wait for swizzle operation
v_accvgpr_write_b32 acc101, v5                     // 
v_accvgpr_read_b32 v5, acc108                      // glvw 1 mb 6 tt1 5 r 0
s_nop 1                                            // v_accvgpr read vgpr after write vgpr: 2 wait states
ds_bpermute_b32 v5, v0, v5, offset:64              // permute edge values
s_waitcnt 0                                        // wait for swizzle operation
v_accvgpr_write_b32 acc108, v5                     // 
v_accvgpr_read_b32 v5, acc109                      // glvw 1 mb 6 tt1 5 r 1
s_nop 1                                            // v_accvgpr read vgpr after write vgpr: 2 wait states
ds_bpermute_b32 v5, v0, v5, offset:64              // permute edge values
s_waitcnt 0                                        // wait for swizzle operation
v_accvgpr_write_b32 acc109, v5                     // 
v_accvgpr_read_b32 v5, acc116                      // glvw 1 mb 6 tt1 6 r 0
s_nop 1                                            // v_accvgpr read vgpr after write vgpr: 2 wait states
ds_bpermute_b32 v5, v0, v5, offset:64              // permute edge values
s_waitcnt 0                                        // wait for swizzle operation
v_accvgpr_write_b32 acc116, v5                     // 
v_accvgpr_read_b32 v5, acc117                      // glvw 1 mb 6 tt1 6 r 1
s_nop 1                                            // v_accvgpr read vgpr after write vgpr: 2 wait states
ds_bpermute_b32 v5, v0, v5, offset:64              // permute edge values
s_waitcnt 0                                        // wait for swizzle operation
v_accvgpr_write_b32 acc117, v5                     // 
v_accvgpr_read_b32 v5, acc124                      // glvw 1 mb 6 tt1 7 r 0
s_nop 1                                            // v_accvgpr read vgpr after write vgpr: 2 wait states
ds_bpermute_b32 v5, v0, v5, offset:64              // permute edge values
s_waitcnt 0                                        // wait for swizzle operation
v_accvgpr_write_b32 acc124, v5                     // 
v_accvgpr_read_b32 v5, acc125                      // glvw 1 mb 6 tt1 7 r 1
s_nop 1                                            // v_accvgpr read vgpr after write vgpr: 2 wait states
ds_bpermute_b32 v5, v0, v5, offset:64              // permute edge values
s_waitcnt 0                                        // wait for swizzle operation
v_accvgpr_write_b32 acc125, v5                     // 
s_mov_b64 s[32:33], 0xFFFFFFFFFFFFFFFF             // to restore all threads active
s_or_saveexec_b64 vcc, s[32:33]                    // all threads active
s_branch label_0048                                // done shifting


/******************************************/
/* shift d1 r=1 mb=7 vw0                  */
/******************************************/
label_0047: // r1 mb7 vw0 
s_mov_b32 s32, 38                                  // 
_v_cmpx_eq_u32 s[32:33], v4, s32                   // is thread in edge glvw region
v_and_b32 v0, 63, v[vgprSerial]                    // permute register between threads
v_lshlrev_b32 v0, 2, v0                            // permute register between threads
v_accvgpr_read_b32 v5, acc70                       // glvw 1 mb 7 tt1 0 r 0
s_nop 1                                            // v_accvgpr read vgpr after write vgpr: 2 wait states
ds_bpermute_b32 v5, v0, v5, offset:64              // permute edge values
s_waitcnt 0                                        // wait for swizzle operation
v_accvgpr_write_b32 acc70, v5                      // 
v_accvgpr_read_b32 v5, acc71                       // glvw 1 mb 7 tt1 0 r 1
s_nop 1                                            // v_accvgpr read vgpr after write vgpr: 2 wait states
ds_bpermute_b32 v5, v0, v5, offset:64              // permute edge values
s_waitcnt 0                                        // wait for swizzle operation
v_accvgpr_write_b32 acc71, v5                      // 
v_accvgpr_read_b32 v5, acc78                       // glvw 1 mb 7 tt1 1 r 0
s_nop 1                                            // v_accvgpr read vgpr after write vgpr: 2 wait states
ds_bpermute_b32 v5, v0, v5, offset:64              // permute edge values
s_waitcnt 0                                        // wait for swizzle operation
v_accvgpr_write_b32 acc78, v5                      // 
v_accvgpr_read_b32 v5, acc79                       // glvw 1 mb 7 tt1 1 r 1
s_nop 1                                            // v_accvgpr read vgpr after write vgpr: 2 wait states
ds_bpermute_b32 v5, v0, v5, offset:64              // permute edge values
s_waitcnt 0                                        // wait for swizzle operation
v_accvgpr_write_b32 acc79, v5                      // 
v_accvgpr_read_b32 v5, acc86                       // glvw 1 mb 7 tt1 2 r 0
s_nop 1                                            // v_accvgpr read vgpr after write vgpr: 2 wait states
ds_bpermute_b32 v5, v0, v5, offset:64              // permute edge values
s_waitcnt 0                                        // wait for swizzle operation
v_accvgpr_write_b32 acc86, v5                      // 
v_accvgpr_read_b32 v5, acc87                       // glvw 1 mb 7 tt1 2 r 1
s_nop 1                                            // v_accvgpr read vgpr after write vgpr: 2 wait states
ds_bpermute_b32 v5, v0, v5, offset:64              // permute edge values
s_waitcnt 0                                        // wait for swizzle operation
v_accvgpr_write_b32 acc87, v5                      // 
v_accvgpr_read_b32 v5, acc94                       // glvw 1 mb 7 tt1 3 r 0
s_nop 1                                            // v_accvgpr read vgpr after write vgpr: 2 wait states
ds_bpermute_b32 v5, v0, v5, offset:64              // permute edge values
s_waitcnt 0                                        // wait for swizzle operation
v_accvgpr_write_b32 acc94, v5                      // 
v_accvgpr_read_b32 v5, acc95                       // glvw 1 mb 7 tt1 3 r 1
s_nop 1                                            // v_accvgpr read vgpr after write vgpr: 2 wait states
ds_bpermute_b32 v5, v0, v5, offset:64              // permute edge values
s_waitcnt 0                                        // wait for swizzle operation
v_accvgpr_write_b32 acc95, v5                      // 
v_accvgpr_read_b32 v5, acc102                      // glvw 1 mb 7 tt1 4 r 0
s_nop 1                                            // v_accvgpr read vgpr after write vgpr: 2 wait states
ds_bpermute_b32 v5, v0, v5, offset:64              // permute edge values
s_waitcnt 0                                        // wait for swizzle operation
v_accvgpr_write_b32 acc102, v5                     // 
v_accvgpr_read_b32 v5, acc103                      // glvw 1 mb 7 tt1 4 r 1
s_nop 1                                            // v_accvgpr read vgpr after write vgpr: 2 wait states
ds_bpermute_b32 v5, v0, v5, offset:64              // permute edge values
s_waitcnt 0                                        // wait for swizzle operation
v_accvgpr_write_b32 acc103, v5                     // 
v_accvgpr_read_b32 v5, acc110                      // glvw 1 mb 7 tt1 5 r 0
s_nop 1                                            // v_accvgpr read vgpr after write vgpr: 2 wait states
ds_bpermute_b32 v5, v0, v5, offset:64              // permute edge values
s_waitcnt 0                                        // wait for swizzle operation
v_accvgpr_write_b32 acc110, v5                     // 
v_accvgpr_read_b32 v5, acc111                      // glvw 1 mb 7 tt1 5 r 1
s_nop 1                                            // v_accvgpr read vgpr after write vgpr: 2 wait states
ds_bpermute_b32 v5, v0, v5, offset:64              // permute edge values
s_waitcnt 0                                        // wait for swizzle operation
v_accvgpr_write_b32 acc111, v5                     // 
v_accvgpr_read_b32 v5, acc118                      // glvw 1 mb 7 tt1 6 r 0
s_nop 1                                            // v_accvgpr read vgpr after write vgpr: 2 wait states
ds_bpermute_b32 v5, v0, v5, offset:64              // permute edge values
s_waitcnt 0                                        // wait for swizzle operation
v_accvgpr_write_b32 acc118, v5                     // 
v_accvgpr_read_b32 v5, acc119                      // glvw 1 mb 7 tt1 6 r 1
s_nop 1                                            // v_accvgpr read vgpr after write vgpr: 2 wait states
ds_bpermute_b32 v5, v0, v5, offset:64              // permute edge values
s_waitcnt 0                                        // wait for swizzle operation
v_accvgpr_write_b32 acc119, v5                     // 
v_accvgpr_read_b32 v5, acc126                      // glvw 1 mb 7 tt1 7 r 0
s_nop 1                                            // v_accvgpr read vgpr after write vgpr: 2 wait states
ds_bpermute_b32 v5, v0, v5, offset:64              // permute edge values
s_waitcnt 0                                        // wait for swizzle operation
v_accvgpr_write_b32 acc126, v5                     // 
v_accvgpr_read_b32 v5, acc127                      // glvw 1 mb 7 tt1 7 r 1
s_nop 1                                            // v_accvgpr read vgpr after write vgpr: 2 wait states
ds_bpermute_b32 v5, v0, v5, offset:64              // permute edge values
s_waitcnt 0                                        // wait for swizzle operation
v_accvgpr_write_b32 acc127, v5                     // 
s_mov_b64 s[32:33], 0xFFFFFFFFFFFFFFFF             // to restore all threads active
s_or_saveexec_b64 vcc, s[32:33]                    // all threads active
s_branch label_0048                                // done shifting

label_0048: // end shift0


	;; [unrolled: 1-line block ×3, first 2 shown]
/* not-LocalSplitU: global write indices */

/* computeStoreVgprs */
v_lshrrev_b32 v4, 6, v[vgprSerial]                 // v4 = v[vgprSerial] / 64
v_and_b32 v1, 63, v[vgprSerial]                    // v1 = v[vgprSerial] % 64
v_lshrrev_b32 v1, 4, v1                            // v1 = v1 / 16
                                                   // thread0 * continuous_output (multiplier is 1, do nothing)
v_lshrrev_b32 v5, 0, v4                            // v5 = v4 / 1
v_mul_lo_u32 v5, 0x10, v5                          // wave coordination offset 1
_v_add_lshl_u32 v1, v5, v1, 0                      // coordination 1 = vwb *(wave_id1 + tid1)
v_mul_lo_u32 v2, v1, s[sgprStrideC1J]              //  offset 1
v_mul_lo_u32 v3, v1, s[sgprStrideD1J]              //  offset 1
v_and_b32 v5, 0, v4                                // v5 = v4 % 1
v_and_b32 v0, 15, v[vgprSerial]                    // v0 = v[vgprSerial] % 16
_v_add_lshl_u32 v0, v5, v0, 0                      // coordination 0 = vwa *(wave_id0 + tid0)
s_mul_i32 s31, 128, s[sgprWorkGroup0]              // wgp0 * MT0
_v_add_u32 v0, s31, v0                             // coord 0 = (tid0/MI_m)*4 + waveG0*MIB_m + MT0*SG0
s_mul_i32 s31, 128, s[sgprWorkGroup1]              // wgp1 * MT1
_v_add_u32 v1, s31, v1                             // coord 1 = (tid0%MI_m) + waveG1*MIB_n + MT1*SG1


/* not-LocalSplitU: global write */

s_mov_b32 s31, s[sgprBeta+0]                       // tmp = Beta[0]
s_or_b32 s31, s[sgprBeta+1], s31                   // tmp |= Beta[1] 
s_cmpk_eq_u32 s31, 0x0                             // Beta == 0
s_cbranch_scc0 GW_Beta_79                          // Branch if Beta is not zero

s_and_b32 s32, 127, s[sgprSizeI]                   // s32 = s[sgprSizeI] % 128
s_add_u32 s33, -0x1, s[sgprNumWorkGroups0]         // 
s_cmp_ge_u32 s[sgprWorkGroup0], s33                // wg0 >= nwg0-1 ?
s_cselect_b32 s32, s32, 0                          // set rMT0
s_cmpk_gt_u32 s32, 0x0                             // rMT0 > 0
s_cbranch_scc1 GW_B0_E1_70                         // jump if edges required
s_and_b32 s32, 127, s[sgprSizeJ]                   // s32 = s[sgprSizeJ] % 128
s_add_u32 s33, -0x1, s[sgprNumWorkGroups1]         // 
s_cmp_ge_u32 s[sgprWorkGroup1], s33                // wg1 >= nwg1-1
s_cselect_b32 s32, s32, 0                          // set rMT1
s_cmpk_gt_u32 s32, 0x0                             // rMT1 > 0
s_cbranch_scc1 GW_B0_E1_70                         // jump if edges required
GW_B0_E0_67:

/* edge=0, allocate 2 sgpr. perBatchTmpS=2 perBatchMaskS=0 perElementMaskS=0 elementsPerBatch=122 */
/* optSingleColVgpr=1 optSharedColVgpr=0 optSGPRUsage=BufferLoad_Mask optSrdIncForRow=1 */
s_sleep 7 // optimization: sync and wait
s_barrier

/******************************************/
/* Global Write Alpha Batch #0 (d1,d0,vc1,vc0) = */
/*    (0,0,0,0:vw1); (0,1,0,0:vw1); (0,2,0,0:vw1); (0,3,0,0:vw1); (0,4,0,0:vw1); (0,5,0,0:vw1); (0,6,0,0:vw1); (0,7,0,0:vw1); (1,0,0,0:vw1); (1,1,0,0:vw1); (1,2,0,0:vw1); (1,3,0,0:vw1); (1,4,0,0:vw1); (1,5,0,0:vw1); (1,6,0,0:vw1); (1,7,0,0:vw1); (2,0,0,0:vw1); (2,1,0,0:vw1); (2,2,0,0:vw1); (2,3,0,0:vw1); (2,4,0,0:vw1); (2,5,0,0:vw1); (2,6,0,0:vw1); (2,7,0,0:vw1); (3,0,0,0:vw1); (3,1,0,0:vw1); (3,2,0,0:vw1); (3,3,0,0:vw1); (3,4,0,0:vw1); (3,5,0,0:vw1); (3,6,0,0:vw1); (3,7,0,0:vw1); (4,0,0,0:vw1); (4,1,0,0:vw1); (4,2,0,0:vw1); (4,3,0,0:vw1); (4,4,0,0:vw1); (4,5,0,0:vw1); (4,6,0,0:vw1); (4,7,0,0:vw1); (5,0,0,0:vw1); (5,1,0,0:vw1); (5,2,0,0:vw1); (5,3,0,0:vw1); (5,4,0,0:vw1); (5,5,0,0:vw1); (5,6,0,0:vw1); (5,7,0,0:vw1); (6,0,0,0:vw1); (6,1,0,0:vw1); (6,2,0,0:vw1); (6,3,0,0:vw1); (6,4,0,0:vw1); (6,5,0,0:vw1); (6,6,0,0:vw1); (6,7,0,0:vw1); (7,0,0,0:vw1); (7,1,0,0:vw1); (7,2,0,0:vw1); (7,3,0,0:vw1); (7,4,0,0:vw1); (7,5,0,0:vw1); (7,6,0,0:vw1); (7,7,0,0:vw1) */
/******************************************/

/* calc coords, apply mask, and issue loads (if necessary) */
/* (d1,vc1,d0,vc0)=(0,0,0,0) */
/* (d1,vc1,d0,vc0)=(0,0,1,0) */
	;; [unrolled: 1-line block ×64, first 2 shown]
_v_add_lshl_u32 v6, v3, v0, 0x3                    // optSingleColVgpr scaleToBpe: sharedAddrVgpr <- cinRowPtr + coord0, scaled by BPE. BSHERE:coord0=0, coord0Vgpr=0
v_accvgpr_read_b32 v[vgprValuC+8], acc0 // copy acc to vreg[0]
v_accvgpr_read_b32 v[vgprValuC+9], acc1 // copy acc to vreg[1]
v_accvgpr_read_b32 v[vgprValuC+10], acc8 // copy acc to vreg[2]
v_accvgpr_read_b32 v[vgprValuC+11], acc9 // copy acc to vreg[3]
v_accvgpr_read_b32 v[vgprValuC+12], acc16 // copy acc to vreg[4]
v_accvgpr_read_b32 v[vgprValuC+13], acc17 // copy acc to vreg[5]
v_accvgpr_read_b32 v[vgprValuC+14], acc24 // copy acc to vreg[6]
v_accvgpr_read_b32 v[vgprValuC+15], acc25 // copy acc to vreg[7]
v_accvgpr_read_b32 v[vgprValuC+16], acc32 // copy acc to vreg[8]
v_accvgpr_read_b32 v[vgprValuC+17], acc33 // copy acc to vreg[9]
v_accvgpr_read_b32 v[vgprValuC+18], acc40 // copy acc to vreg[10]
v_accvgpr_read_b32 v[vgprValuC+19], acc41 // copy acc to vreg[11]
v_accvgpr_read_b32 v[vgprValuC+20], acc48 // copy acc to vreg[12]
v_accvgpr_read_b32 v[vgprValuC+21], acc49 // copy acc to vreg[13]
v_accvgpr_read_b32 v[vgprValuC+22], acc56 // copy acc to vreg[14]
v_accvgpr_read_b32 v[vgprValuC+23], acc57 // copy acc to vreg[15]
v_accvgpr_read_b32 v[vgprValuC+24], acc2 // copy acc to vreg[16]
v_accvgpr_read_b32 v[vgprValuC+25], acc3 // copy acc to vreg[17]
v_accvgpr_read_b32 v[vgprValuC+26], acc10 // copy acc to vreg[18]
v_accvgpr_read_b32 v[vgprValuC+27], acc11 // copy acc to vreg[19]
v_accvgpr_read_b32 v[vgprValuC+28], acc18 // copy acc to vreg[20]
v_accvgpr_read_b32 v[vgprValuC+29], acc19 // copy acc to vreg[21]
v_accvgpr_read_b32 v[vgprValuC+30], acc26 // copy acc to vreg[22]
v_accvgpr_read_b32 v[vgprValuC+31], acc27 // copy acc to vreg[23]
v_accvgpr_read_b32 v[vgprValuC+32], acc34 // copy acc to vreg[24]
v_accvgpr_read_b32 v[vgprValuC+33], acc35 // copy acc to vreg[25]
v_accvgpr_read_b32 v[vgprValuC+34], acc42 // copy acc to vreg[26]
v_accvgpr_read_b32 v[vgprValuC+35], acc43 // copy acc to vreg[27]
v_accvgpr_read_b32 v[vgprValuC+36], acc50 // copy acc to vreg[28]
v_accvgpr_read_b32 v[vgprValuC+37], acc51 // copy acc to vreg[29]
v_accvgpr_read_b32 v[vgprValuC+38], acc58 // copy acc to vreg[30]
v_accvgpr_read_b32 v[vgprValuC+39], acc59 // copy acc to vreg[31]
v_accvgpr_read_b32 v[vgprValuC+40], acc4 // copy acc to vreg[32]
v_accvgpr_read_b32 v[vgprValuC+41], acc5 // copy acc to vreg[33]
v_accvgpr_read_b32 v[vgprValuC+42], acc12 // copy acc to vreg[34]
v_accvgpr_read_b32 v[vgprValuC+43], acc13 // copy acc to vreg[35]
v_accvgpr_read_b32 v[vgprValuC+44], acc20 // copy acc to vreg[36]
v_accvgpr_read_b32 v[vgprValuC+45], acc21 // copy acc to vreg[37]
v_accvgpr_read_b32 v[vgprValuC+46], acc28 // copy acc to vreg[38]
v_accvgpr_read_b32 v[vgprValuC+47], acc29 // copy acc to vreg[39]
v_accvgpr_read_b32 v[vgprValuC+48], acc36 // copy acc to vreg[40]
v_accvgpr_read_b32 v[vgprValuC+49], acc37 // copy acc to vreg[41]
v_accvgpr_read_b32 v[vgprValuC+50], acc44 // copy acc to vreg[42]
v_accvgpr_read_b32 v[vgprValuC+51], acc45 // copy acc to vreg[43]
v_accvgpr_read_b32 v[vgprValuC+52], acc52 // copy acc to vreg[44]
v_accvgpr_read_b32 v[vgprValuC+53], acc53 // copy acc to vreg[45]
v_accvgpr_read_b32 v[vgprValuC+54], acc60 // copy acc to vreg[46]
v_accvgpr_read_b32 v[vgprValuC+55], acc61 // copy acc to vreg[47]
v_accvgpr_read_b32 v[vgprValuC+56], acc6 // copy acc to vreg[48]
v_accvgpr_read_b32 v[vgprValuC+57], acc7 // copy acc to vreg[49]
v_accvgpr_read_b32 v[vgprValuC+58], acc14 // copy acc to vreg[50]
v_accvgpr_read_b32 v[vgprValuC+59], acc15 // copy acc to vreg[51]
v_accvgpr_read_b32 v[vgprValuC+60], acc22 // copy acc to vreg[52]
v_accvgpr_read_b32 v[vgprValuC+61], acc23 // copy acc to vreg[53]
v_accvgpr_read_b32 v[vgprValuC+62], acc30 // copy acc to vreg[54]
v_accvgpr_read_b32 v[vgprValuC+63], acc31 // copy acc to vreg[55]
v_accvgpr_read_b32 v[vgprValuC+64], acc38 // copy acc to vreg[56]
v_accvgpr_read_b32 v[vgprValuC+65], acc39 // copy acc to vreg[57]
v_accvgpr_read_b32 v[vgprValuC+66], acc46 // copy acc to vreg[58]
v_accvgpr_read_b32 v[vgprValuC+67], acc47 // copy acc to vreg[59]
v_accvgpr_read_b32 v[vgprValuC+68], acc54 // copy acc to vreg[60]
v_accvgpr_read_b32 v[vgprValuC+69], acc55 // copy acc to vreg[61]
v_accvgpr_read_b32 v[vgprValuC+70], acc62 // copy acc to vreg[62]
v_accvgpr_read_b32 v[vgprValuC+71], acc63 // copy acc to vreg[63]
v_accvgpr_read_b32 v[vgprValuC+72], acc64 // copy acc to vreg[64]
v_accvgpr_read_b32 v[vgprValuC+73], acc65 // copy acc to vreg[65]
v_accvgpr_read_b32 v[vgprValuC+74], acc72 // copy acc to vreg[66]
v_accvgpr_read_b32 v[vgprValuC+75], acc73 // copy acc to vreg[67]
v_accvgpr_read_b32 v[vgprValuC+76], acc80 // copy acc to vreg[68]
v_accvgpr_read_b32 v[vgprValuC+77], acc81 // copy acc to vreg[69]
v_accvgpr_read_b32 v[vgprValuC+78], acc88 // copy acc to vreg[70]
v_accvgpr_read_b32 v[vgprValuC+79], acc89 // copy acc to vreg[71]
v_accvgpr_read_b32 v[vgprValuC+80], acc96 // copy acc to vreg[72]
v_accvgpr_read_b32 v[vgprValuC+81], acc97 // copy acc to vreg[73]
v_accvgpr_read_b32 v[vgprValuC+82], acc104 // copy acc to vreg[74]
v_accvgpr_read_b32 v[vgprValuC+83], acc105 // copy acc to vreg[75]
v_accvgpr_read_b32 v[vgprValuC+84], acc112 // copy acc to vreg[76]
v_accvgpr_read_b32 v[vgprValuC+85], acc113 // copy acc to vreg[77]
v_accvgpr_read_b32 v[vgprValuC+86], acc120 // copy acc to vreg[78]
v_accvgpr_read_b32 v[vgprValuC+87], acc121 // copy acc to vreg[79]
v_accvgpr_read_b32 v[vgprValuC+88], acc66 // copy acc to vreg[80]
v_accvgpr_read_b32 v[vgprValuC+89], acc67 // copy acc to vreg[81]
v_accvgpr_read_b32 v[vgprValuC+90], acc74 // copy acc to vreg[82]
v_accvgpr_read_b32 v[vgprValuC+91], acc75 // copy acc to vreg[83]
v_accvgpr_read_b32 v[vgprValuC+92], acc82 // copy acc to vreg[84]
v_accvgpr_read_b32 v[vgprValuC+93], acc83 // copy acc to vreg[85]
v_accvgpr_read_b32 v[vgprValuC+94], acc90 // copy acc to vreg[86]
v_accvgpr_read_b32 v[vgprValuC+95], acc91 // copy acc to vreg[87]
v_accvgpr_read_b32 v[vgprValuC+96], acc98 // copy acc to vreg[88]
v_accvgpr_read_b32 v[vgprValuC+97], acc99 // copy acc to vreg[89]
v_accvgpr_read_b32 v[vgprValuC+98], acc106 // copy acc to vreg[90]
v_accvgpr_read_b32 v[vgprValuC+99], acc107 // copy acc to vreg[91]
v_accvgpr_read_b32 v[vgprValuC+100], acc114 // copy acc to vreg[92]
v_accvgpr_read_b32 v[vgprValuC+101], acc115 // copy acc to vreg[93]
v_accvgpr_read_b32 v[vgprValuC+102], acc122 // copy acc to vreg[94]
v_accvgpr_read_b32 v[vgprValuC+103], acc123 // copy acc to vreg[95]
v_accvgpr_read_b32 v[vgprValuC+104], acc68 // copy acc to vreg[96]
v_accvgpr_read_b32 v[vgprValuC+105], acc69 // copy acc to vreg[97]
v_accvgpr_read_b32 v[vgprValuC+106], acc76 // copy acc to vreg[98]
v_accvgpr_read_b32 v[vgprValuC+107], acc77 // copy acc to vreg[99]
v_accvgpr_read_b32 v[vgprValuC+108], acc84 // copy acc to vreg[100]
v_accvgpr_read_b32 v[vgprValuC+109], acc85 // copy acc to vreg[101]
v_accvgpr_read_b32 v[vgprValuC+110], acc92 // copy acc to vreg[102]
v_accvgpr_read_b32 v[vgprValuC+111], acc93 // copy acc to vreg[103]
v_accvgpr_read_b32 v[vgprValuC+112], acc100 // copy acc to vreg[104]
v_accvgpr_read_b32 v[vgprValuC+113], acc101 // copy acc to vreg[105]
v_accvgpr_read_b32 v[vgprValuC+114], acc108 // copy acc to vreg[106]
v_accvgpr_read_b32 v[vgprValuC+115], acc109 // copy acc to vreg[107]
v_accvgpr_read_b32 v[vgprValuC+116], acc116 // copy acc to vreg[108]
v_accvgpr_read_b32 v[vgprValuC+117], acc117 // copy acc to vreg[109]
v_accvgpr_read_b32 v[vgprValuC+118], acc124 // copy acc to vreg[110]
v_accvgpr_read_b32 v[vgprValuC+119], acc125 // copy acc to vreg[111]
v_accvgpr_read_b32 v[vgprValuC+120], acc70 // copy acc to vreg[112]
v_accvgpr_read_b32 v[vgprValuC+121], acc71 // copy acc to vreg[113]
v_accvgpr_read_b32 v[vgprValuC+126], acc78 // copy acc to vreg[114]
v_accvgpr_read_b32 v[vgprValuC+127], acc79 // copy acc to vreg[115]
v_accvgpr_read_b32 v[vgprValuC+128], acc86 // copy acc to vreg[116]
v_accvgpr_read_b32 v[vgprValuC+129], acc87 // copy acc to vreg[117]
v_accvgpr_read_b32 v[vgprValuC+130], acc94 // copy acc to vreg[118]
v_accvgpr_read_b32 v[vgprValuC+131], acc95 // copy acc to vreg[119]
v_accvgpr_read_b32 v[vgprValuC+132], acc102 // copy acc to vreg[120]
v_accvgpr_read_b32 v[vgprValuC+133], acc103 // copy acc to vreg[121]
v_accvgpr_read_b32 v[vgprValuC+134], acc110 // copy acc to vreg[122]
v_accvgpr_read_b32 v[vgprValuC+135], acc111 // copy acc to vreg[123]
v_accvgpr_read_b32 v[vgprValuC+136], acc118 // copy acc to vreg[124]
v_accvgpr_read_b32 v[vgprValuC+137], acc119 // copy acc to vreg[125]
v_accvgpr_read_b32 v[vgprValuC+138], acc126 // copy acc to vreg[126]
v_accvgpr_read_b32 v[vgprValuC+139], acc127 // copy acc to vreg[127]
s_nop 1                                            // 2 wait states required before reading vgpr

/* rC *= alpha batchElements=[(0, 0, 0, 0), (0, 1, 0, 0), (0, 2, 0, 0), (0, 3, 0, 0), (0, 4, 0, 0), (0, 5, 0, 0), (0, 6, 0, 0), (0, 7, 0, 0), (1, 0, 0, 0), (1, 1, 0, 0), (1, 2, 0, 0), (1, 3, 0, 0), (1, 4, 0, 0), (1, 5, 0, 0), (1, 6, 0, 0), (1, 7, 0, 0), (2, 0, 0, 0), (2, 1, 0, 0), (2, 2, 0, 0), (2, 3, 0, 0), (2, 4, 0, 0), (2, 5, 0, 0), (2, 6, 0, 0), (2, 7, 0, 0), (3, 0, 0, 0), (3, 1, 0, 0), (3, 2, 0, 0), (3, 3, 0, 0), (3, 4, 0, 0), (3, 5, 0, 0), (3, 6, 0, 0), (3, 7, 0, 0), (4, 0, 0, 0), (4, 1, 0, 0), (4, 2, 0, 0), (4, 3, 0, 0), (4, 4, 0, 0), (4, 5, 0, 0), (4, 6, 0, 0), (4, 7, 0, 0), (5, 0, 0, 0), (5, 1, 0, 0), (5, 2, 0, 0), (5, 3, 0, 0), (5, 4, 0, 0), (5, 5, 0, 0), (5, 6, 0, 0), (5, 7, 0, 0), (6, 0, 0, 0), (6, 1, 0, 0), (6, 2, 0, 0), (6, 3, 0, 0), (6, 4, 0, 0), (6, 5, 0, 0), (6, 6, 0, 0), (6, 7, 0, 0), (7, 0, 0, 0), (7, 1, 0, 0), (7, 2, 0, 0), (7, 3, 0, 0), (7, 4, 0, 0), (7, 5, 0, 0), (7, 6, 0, 0), (7, 7, 0, 0)] */
v_mul_f64 v[vgprValuC+8:vgprValuC+8+1], s[sgprAlpha:sgprAlpha+1], v[vgprValuC+8:vgprValuC+8+1] // *= alpha
v_mul_f64 v[vgprValuC+10:vgprValuC+10+1], s[sgprAlpha:sgprAlpha+1], v[vgprValuC+10:vgprValuC+10+1] // *= alpha
	;; [unrolled: 1-line block ×64, first 2 shown]

/* apply mask, calc new C and issue writes */
_buffer_store_b64 v[8:9], v6, s[sgprSrdD:sgprSrdD+3], 0, offen, offset:0,  sc0 sc1 // store D
_buffer_store_b64 v[10:11], v6, s[sgprSrdD:sgprSrdD+3], 0, offen, offset:128,  sc0 sc1 // store D
_buffer_store_b64 v[12:13], v6, s[sgprSrdD:sgprSrdD+3], 0, offen, offset:256,  sc0 sc1 // store D
_buffer_store_b64 v[14:15], v6, s[sgprSrdD:sgprSrdD+3], 0, offen, offset:384,  sc0 sc1 // store D
_buffer_store_b64 v[16:17], v6, s[sgprSrdD:sgprSrdD+3], 0, offen, offset:512,  sc0 sc1 // store D
_buffer_store_b64 v[18:19], v6, s[sgprSrdD:sgprSrdD+3], 0, offen, offset:640,  sc0 sc1 // store D
_buffer_store_b64 v[20:21], v6, s[sgprSrdD:sgprSrdD+3], 0, offen, offset:768,  sc0 sc1 // store D
_buffer_store_b64 v[22:23], v6, s[sgprSrdD:sgprSrdD+3], 0, offen, offset:896,  sc0 sc1 // store D
s_mul_i32 s32, s[sgprStrideD1J], 32                // scale StrideD *= numRows(4) * bpe
s_add_u32  s[sgprSrdD+0], s[sgprSrdD+0], s32       // incToNextRow: gra SRD += inc(lower)
s_addc_u32  s[sgprSrdD+1], s[sgprSrdD+1], 0        // incToNextRow: gra SRD += inc(upper)
_buffer_store_b64 v[24:25], v6, s[sgprSrdD:sgprSrdD+3], 0, offen, offset:0,  sc0 sc1 // store D
_buffer_store_b64 v[26:27], v6, s[sgprSrdD:sgprSrdD+3], 0, offen, offset:128,  sc0 sc1 // store D
_buffer_store_b64 v[28:29], v6, s[sgprSrdD:sgprSrdD+3], 0, offen, offset:256,  sc0 sc1 // store D
_buffer_store_b64 v[30:31], v6, s[sgprSrdD:sgprSrdD+3], 0, offen, offset:384,  sc0 sc1 // store D
_buffer_store_b64 v[32:33], v6, s[sgprSrdD:sgprSrdD+3], 0, offen, offset:512,  sc0 sc1 // store D
_buffer_store_b64 v[34:35], v6, s[sgprSrdD:sgprSrdD+3], 0, offen, offset:640,  sc0 sc1 // store D
_buffer_store_b64 v[36:37], v6, s[sgprSrdD:sgprSrdD+3], 0, offen, offset:768,  sc0 sc1 // store D
_buffer_store_b64 v[38:39], v6, s[sgprSrdD:sgprSrdD+3], 0, offen, offset:896,  sc0 sc1 // store D
s_mul_i32 s32, s[sgprStrideD1J], 32                // scale StrideD *= numRows(4) * bpe
s_add_u32  s[sgprSrdD+0], s[sgprSrdD+0], s32       // incToNextRow: gra SRD += inc(lower)
s_addc_u32  s[sgprSrdD+1], s[sgprSrdD+1], 0        // incToNextRow: gra SRD += inc(upper)
	;; [unrolled: 11-line block ×3, first 2 shown]
_buffer_store_b64 v[56:57], v6, s[sgprSrdD:sgprSrdD+3], 0, offen, offset:0,  sc0 sc1 // store D
_buffer_store_b64 v[58:59], v6, s[sgprSrdD:sgprSrdD+3], 0, offen, offset:128,  sc0 sc1 // store D
	;; [unrolled: 1-line block ×8, first 2 shown]
s_mul_i32 s32, s[sgprStrideD1J], 416               // scale StrideD *= numRows(52) * bpe
s_add_u32  s[sgprSrdD+0], s[sgprSrdD+0], s32       // incToNextRow: gra SRD += inc(lower)
s_addc_u32  s[sgprSrdD+1], s[sgprSrdD+1], 0        // incToNextRow: gra SRD += inc(upper)
_buffer_store_b64 v[72:73], v6, s[sgprSrdD:sgprSrdD+3], 0, offen, offset:0,  sc0 sc1 // store D
_buffer_store_b64 v[74:75], v6, s[sgprSrdD:sgprSrdD+3], 0, offen, offset:128,  sc0 sc1 // store D
_buffer_store_b64 v[76:77], v6, s[sgprSrdD:sgprSrdD+3], 0, offen, offset:256,  sc0 sc1 // store D
_buffer_store_b64 v[78:79], v6, s[sgprSrdD:sgprSrdD+3], 0, offen, offset:384,  sc0 sc1 // store D
_buffer_store_b64 v[80:81], v6, s[sgprSrdD:sgprSrdD+3], 0, offen, offset:512,  sc0 sc1 // store D
_buffer_store_b64 v[82:83], v6, s[sgprSrdD:sgprSrdD+3], 0, offen, offset:640,  sc0 sc1 // store D
_buffer_store_b64 v[84:85], v6, s[sgprSrdD:sgprSrdD+3], 0, offen, offset:768,  sc0 sc1 // store D
_buffer_store_b64 v[86:87], v6, s[sgprSrdD:sgprSrdD+3], 0, offen, offset:896,  sc0 sc1 // store D
s_mul_i32 s32, s[sgprStrideD1J], 32                // scale StrideD *= numRows(4) * bpe
s_add_u32  s[sgprSrdD+0], s[sgprSrdD+0], s32       // incToNextRow: gra SRD += inc(lower)
s_addc_u32  s[sgprSrdD+1], s[sgprSrdD+1], 0        // incToNextRow: gra SRD += inc(upper)
_buffer_store_b64 v[88:89], v6, s[sgprSrdD:sgprSrdD+3], 0, offen, offset:0,  sc0 sc1 // store D
_buffer_store_b64 v[90:91], v6, s[sgprSrdD:sgprSrdD+3], 0, offen, offset:128,  sc0 sc1 // store D
_buffer_store_b64 v[92:93], v6, s[sgprSrdD:sgprSrdD+3], 0, offen, offset:256,  sc0 sc1 // store D
_buffer_store_b64 v[94:95], v6, s[sgprSrdD:sgprSrdD+3], 0, offen, offset:384,  sc0 sc1 // store D
_buffer_store_b64 v[96:97], v6, s[sgprSrdD:sgprSrdD+3], 0, offen, offset:512,  sc0 sc1 // store D
_buffer_store_b64 v[98:99], v6, s[sgprSrdD:sgprSrdD+3], 0, offen, offset:640,  sc0 sc1 // store D
_buffer_store_b64 v[100:101], v6, s[sgprSrdD:sgprSrdD+3], 0, offen, offset:768,  sc0 sc1 // store D
_buffer_store_b64 v[102:103], v6, s[sgprSrdD:sgprSrdD+3], 0, offen, offset:896,  sc0 sc1 // store D
s_mul_i32 s32, s[sgprStrideD1J], 32                // scale StrideD *= numRows(4) * bpe
	;; [unrolled: 11-line block ×3, first 2 shown]
s_add_u32  s[sgprSrdD+0], s[sgprSrdD+0], s32       // incToNextRow: gra SRD += inc(lower)
s_addc_u32  s[sgprSrdD+1], s[sgprSrdD+1], 0        // incToNextRow: gra SRD += inc(upper)
_buffer_store_b64 v[120:121], v6, s[sgprSrdD:sgprSrdD+3], 0, offen, offset:0,  sc0 sc1 // store D
_buffer_store_b64 v[126:127], v6, s[sgprSrdD:sgprSrdD+3], 0, offen, offset:128,  sc0 sc1 // store D
	;; [unrolled: 1-line block ×8, first 2 shown]
s_nop 0                                            // 1 wait state required when next inst writes vgprs held by previous dwordx4 store inst
s_branch label_GW_End_78                           // jump to end
GW_B0_E1_70:

/* edge=1, allocate 6 sgpr. perBatchTmpS=4 perBatchMaskS=2 perElementMaskS=0 elementsPerBatch=61 */
/* optSingleColVgpr=0 optSharedColVgpr=0 optSGPRUsage=BufferLoad_Edge_Mask optSrdIncForRow=0 */
s_sleep 7 // optimization: sync and wait
s_barrier

/******************************************/
/* Global Write Alpha Edge Batch #0 (d1,d0,vc1,vc0) = */
/*    (0,0,0,0:vw1); (0,1,0,0:vw1); (0,2,0,0:vw1); (0,3,0,0:vw1); (0,4,0,0:vw1); (0,5,0,0:vw1); (0,6,0,0:vw1); (0,7,0,0:vw1); (1,0,0,0:vw1); (1,1,0,0:vw1); (1,2,0,0:vw1); (1,3,0,0:vw1); (1,4,0,0:vw1); (1,5,0,0:vw1); (1,6,0,0:vw1); (1,7,0,0:vw1); (2,0,0,0:vw1); (2,1,0,0:vw1); (2,2,0,0:vw1); (2,3,0,0:vw1); (2,4,0,0:vw1); (2,5,0,0:vw1); (2,6,0,0:vw1); (2,7,0,0:vw1); (3,0,0,0:vw1); (3,1,0,0:vw1); (3,2,0,0:vw1); (3,3,0,0:vw1); (3,4,0,0:vw1); (3,5,0,0:vw1); (3,6,0,0:vw1); (3,7,0,0:vw1); (4,0,0,0:vw1); (4,1,0,0:vw1); (4,2,0,0:vw1); (4,3,0,0:vw1); (4,4,0,0:vw1); (4,5,0,0:vw1); (4,6,0,0:vw1); (4,7,0,0:vw1); (5,0,0,0:vw1); (5,1,0,0:vw1); (5,2,0,0:vw1); (5,3,0,0:vw1); (5,4,0,0:vw1); (5,5,0,0:vw1); (5,6,0,0:vw1); (5,7,0,0:vw1); (6,0,0,0:vw1); (6,1,0,0:vw1); (6,2,0,0:vw1); (6,3,0,0:vw1); (6,4,0,0:vw1); (6,5,0,0:vw1); (6,6,0,0:vw1); (6,7,0,0:vw1); (7,0,0,0:vw1); (7,1,0,0:vw1); (7,2,0,0:vw1); (7,3,0,0:vw1); (7,4,0,0:vw1) */
/******************************************/

/* calc coords, apply mask, and issue loads (if necessary) */
/* (d1,vc1,d0,vc0)=(0,0,0,0) */
v_cmp_lt_u32 s[54:55], v0, s[sgprSizeI]            // coord0 < size0
v_cmp_lt_u32 s[58:59], v1, s[sgprSizeJ]            // coord1 < size1
s_and_b64 s[58:59], s[54:55], s[58:59]             // in0 && in1
_v_add_lshl_u32 v6, v3, v0, 0x3                    // scaleToBpe: accumulate d0 lower and *= bpe into Cin addr
v_cndmask_b32 v6, -1, v6, s[58:59]                 // LDD clip if OOB. offset
/* (d1,vc1,d0,vc0)=(0,0,1,0) */
_v_add_co_u32 v4, vcc, v0, 16                      // coord0.1: coord0 += d0*sg0*VW + vc0
v_cmp_lt_u32 s[54:55], v4, s[sgprSizeI]            // coord0 < size0
v_cmp_lt_u32 s[58:59], v1, s[sgprSizeJ]            // coord1 < size1
s_and_b64 s[58:59], s[54:55], s[58:59]             // in0 && in1
_v_add_lshl_u32 v10, v3, v4, 0x3                   // scaleToBpe: accumulate d0 lower and *= bpe into Cin addr
v_cndmask_b32 v10, -1, v10, s[58:59]               // LDD clip if OOB. offset
/* (d1,vc1,d0,vc0)=(0,0,2,0) */
_v_add_co_u32 v4, vcc, v0, 32                      // coord0.1: coord0 += d0*sg0*VW + vc0
v_cmp_lt_u32 s[54:55], v4, s[sgprSizeI]            // coord0 < size0
v_cmp_lt_u32 s[58:59], v1, s[sgprSizeJ]            // coord1 < size1
s_and_b64 s[58:59], s[54:55], s[58:59]             // in0 && in1
_v_add_lshl_u32 v14, v3, v4, 0x3                   // scaleToBpe: accumulate d0 lower and *= bpe into Cin addr
v_cndmask_b32 v14, -1, v14, s[58:59]               // LDD clip if OOB. offset
	;; [unrolled: 7-line block ×4, first 2 shown]
/* (d1,vc1,d0,vc0)=(0,0,5,0) */
s_mov_b32 s54, 80                                  // coordOffset0 d0=5 vc0=0
_v_add_co_u32 v4, vcc, v0, s54                     // coord0.2: coord0 += d0*sg0*VW + vc0
v_cmp_lt_u32 s[54:55], v4, s[sgprSizeI]            // coord0 < size0
v_cmp_lt_u32 s[58:59], v1, s[sgprSizeJ]            // coord1 < size1
s_and_b64 s[58:59], s[54:55], s[58:59]             // in0 && in1
_v_add_lshl_u32 v26, v3, v4, 0x3                   // scaleToBpe: accumulate d0 lower and *= bpe into Cin addr
v_cndmask_b32 v26, -1, v26, s[58:59]               // LDD clip if OOB. offset
/* (d1,vc1,d0,vc0)=(0,0,6,0) */
s_mov_b32 s54, 96                                  // coordOffset0 d0=6 vc0=0
_v_add_co_u32 v4, vcc, v0, s54                     // coord0.2: coord0 += d0*sg0*VW + vc0
v_cmp_lt_u32 s[54:55], v4, s[sgprSizeI]            // coord0 < size0
v_cmp_lt_u32 s[58:59], v1, s[sgprSizeJ]            // coord1 < size1
s_and_b64 s[58:59], s[54:55], s[58:59]             // in0 && in1
_v_add_lshl_u32 v30, v3, v4, 0x3                   // scaleToBpe: accumulate d0 lower and *= bpe into Cin addr
v_cndmask_b32 v30, -1, v30, s[58:59]               // LDD clip if OOB. offset
/* (d1,vc1,d0,vc0)=(0,0,7,0) */
s_mov_b32 s54, 112                                 // coordOffset0 d0=7 vc0=0
_v_add_co_u32 v4, vcc, v0, s54                     // coord0.2: coord0 += d0*sg0*VW + vc0
v_cmp_lt_u32 s[54:55], v4, s[sgprSizeI]            // coord0 < size0
v_cmp_lt_u32 s[58:59], v1, s[sgprSizeJ]            // coord1 < size1
s_and_b64 s[58:59], s[54:55], s[58:59]             // in0 && in1
_v_add_lshl_u32 v34, v3, v4, 0x3                   // scaleToBpe: accumulate d0 lower and *= bpe into Cin addr
v_cndmask_b32 v34, -1, v34, s[58:59]               // LDD clip if OOB. offset
/* (d1,vc1,d0,vc0)=(1,0,0,0) */
_v_add_co_u32 v1, vcc, v1, 4                       // coord1.1: coord1Vgpr += d1*sg1*VW + vc1

/* Fix for UseInitialStridesCD, emitAddressSetupCode */
s_mul_i32 s54, s[sgprStrideC1J], 4                 // scale stride
_v_add_u32 v2, v2, s54                             // ROWINC- Move cinRowPtr to next row
s_mul_i32 s54, s[sgprStrideD1J], 4                 // scale stride
_v_add_u32 v3, v3, s54                             // Move coutRowPtr to next row
v_cmp_lt_u32 s[54:55], v0, s[sgprSizeI]            // coord0 < size0
v_cmp_lt_u32 s[58:59], v1, s[sgprSizeJ]            // coord1 < size1
s_and_b64 s[58:59], s[54:55], s[58:59]             // in0 && in1
_v_add_lshl_u32 v38, v3, v0, 0x3                   // scaleToBpe: accumulate d0 lower and *= bpe into Cin addr
v_cndmask_b32 v38, -1, v38, s[58:59]               // LDD clip if OOB. offset
/* (d1,vc1,d0,vc0)=(1,0,1,0) */
_v_add_co_u32 v4, vcc, v0, 16                      // coord0.1: coord0 += d0*sg0*VW + vc0
v_cmp_lt_u32 s[54:55], v4, s[sgprSizeI]            // coord0 < size0
v_cmp_lt_u32 s[58:59], v1, s[sgprSizeJ]            // coord1 < size1
s_and_b64 s[58:59], s[54:55], s[58:59]             // in0 && in1
_v_add_lshl_u32 v42, v3, v4, 0x3                   // scaleToBpe: accumulate d0 lower and *= bpe into Cin addr
v_cndmask_b32 v42, -1, v42, s[58:59]               // LDD clip if OOB. offset
/* (d1,vc1,d0,vc0)=(1,0,2,0) */
_v_add_co_u32 v4, vcc, v0, 32                      // coord0.1: coord0 += d0*sg0*VW + vc0
	;; [unrolled: 7-line block ×4, first 2 shown]
v_cmp_lt_u32 s[54:55], v4, s[sgprSizeI]            // coord0 < size0
v_cmp_lt_u32 s[58:59], v1, s[sgprSizeJ]            // coord1 < size1
s_and_b64 s[58:59], s[54:55], s[58:59]             // in0 && in1
_v_add_lshl_u32 v54, v3, v4, 0x3                   // scaleToBpe: accumulate d0 lower and *= bpe into Cin addr
v_cndmask_b32 v54, -1, v54, s[58:59]               // LDD clip if OOB. offset
/* (d1,vc1,d0,vc0)=(1,0,5,0) */
s_mov_b32 s54, 80                                  // coordOffset0 d0=5 vc0=0
_v_add_co_u32 v4, vcc, v0, s54                     // coord0.2: coord0 += d0*sg0*VW + vc0
v_cmp_lt_u32 s[54:55], v4, s[sgprSizeI]            // coord0 < size0
v_cmp_lt_u32 s[58:59], v1, s[sgprSizeJ]            // coord1 < size1
s_and_b64 s[58:59], s[54:55], s[58:59]             // in0 && in1
_v_add_lshl_u32 v58, v3, v4, 0x3                   // scaleToBpe: accumulate d0 lower and *= bpe into Cin addr
v_cndmask_b32 v58, -1, v58, s[58:59]               // LDD clip if OOB. offset
/* (d1,vc1,d0,vc0)=(1,0,6,0) */
s_mov_b32 s54, 96                                  // coordOffset0 d0=6 vc0=0
_v_add_co_u32 v4, vcc, v0, s54                     // coord0.2: coord0 += d0*sg0*VW + vc0
v_cmp_lt_u32 s[54:55], v4, s[sgprSizeI]            // coord0 < size0
v_cmp_lt_u32 s[58:59], v1, s[sgprSizeJ]            // coord1 < size1
s_and_b64 s[58:59], s[54:55], s[58:59]             // in0 && in1
_v_add_lshl_u32 v62, v3, v4, 0x3                   // scaleToBpe: accumulate d0 lower and *= bpe into Cin addr
v_cndmask_b32 v62, -1, v62, s[58:59]               // LDD clip if OOB. offset
/* (d1,vc1,d0,vc0)=(1,0,7,0) */
s_mov_b32 s54, 112                                 // coordOffset0 d0=7 vc0=0
_v_add_co_u32 v4, vcc, v0, s54                     // coord0.2: coord0 += d0*sg0*VW + vc0
v_cmp_lt_u32 s[54:55], v4, s[sgprSizeI]            // coord0 < size0
v_cmp_lt_u32 s[58:59], v1, s[sgprSizeJ]            // coord1 < size1
s_and_b64 s[58:59], s[54:55], s[58:59]             // in0 && in1
_v_add_lshl_u32 v66, v3, v4, 0x3                   // scaleToBpe: accumulate d0 lower and *= bpe into Cin addr
v_cndmask_b32 v66, -1, v66, s[58:59]               // LDD clip if OOB. offset
/* (d1,vc1,d0,vc0)=(2,0,0,0) */
_v_add_co_u32 v1, vcc, v1, 4                       // coord1.1: coord1Vgpr += d1*sg1*VW + vc1

/* Fix for UseInitialStridesCD, emitAddressSetupCode */
s_mul_i32 s54, s[sgprStrideC1J], 4                 // scale stride
_v_add_u32 v2, v2, s54                             // ROWINC- Move cinRowPtr to next row
s_mul_i32 s54, s[sgprStrideD1J], 4                 // scale stride
_v_add_u32 v3, v3, s54                             // Move coutRowPtr to next row
v_cmp_lt_u32 s[54:55], v0, s[sgprSizeI]            // coord0 < size0
v_cmp_lt_u32 s[58:59], v1, s[sgprSizeJ]            // coord1 < size1
s_and_b64 s[58:59], s[54:55], s[58:59]             // in0 && in1
_v_add_lshl_u32 v70, v3, v0, 0x3                   // scaleToBpe: accumulate d0 lower and *= bpe into Cin addr
v_cndmask_b32 v70, -1, v70, s[58:59]               // LDD clip if OOB. offset
/* (d1,vc1,d0,vc0)=(2,0,1,0) */
_v_add_co_u32 v4, vcc, v0, 16                      // coord0.1: coord0 += d0*sg0*VW + vc0
v_cmp_lt_u32 s[54:55], v4, s[sgprSizeI]            // coord0 < size0
v_cmp_lt_u32 s[58:59], v1, s[sgprSizeJ]            // coord1 < size1
s_and_b64 s[58:59], s[54:55], s[58:59]             // in0 && in1
_v_add_lshl_u32 v74, v3, v4, 0x3                   // scaleToBpe: accumulate d0 lower and *= bpe into Cin addr
v_cndmask_b32 v74, -1, v74, s[58:59]               // LDD clip if OOB. offset
/* (d1,vc1,d0,vc0)=(2,0,2,0) */
_v_add_co_u32 v4, vcc, v0, 32                      // coord0.1: coord0 += d0*sg0*VW + vc0
	;; [unrolled: 7-line block ×4, first 2 shown]
v_cmp_lt_u32 s[54:55], v4, s[sgprSizeI]            // coord0 < size0
v_cmp_lt_u32 s[58:59], v1, s[sgprSizeJ]            // coord1 < size1
s_and_b64 s[58:59], s[54:55], s[58:59]             // in0 && in1
_v_add_lshl_u32 v86, v3, v4, 0x3                   // scaleToBpe: accumulate d0 lower and *= bpe into Cin addr
v_cndmask_b32 v86, -1, v86, s[58:59]               // LDD clip if OOB. offset
/* (d1,vc1,d0,vc0)=(2,0,5,0) */
s_mov_b32 s54, 80                                  // coordOffset0 d0=5 vc0=0
_v_add_co_u32 v4, vcc, v0, s54                     // coord0.2: coord0 += d0*sg0*VW + vc0
v_cmp_lt_u32 s[54:55], v4, s[sgprSizeI]            // coord0 < size0
v_cmp_lt_u32 s[58:59], v1, s[sgprSizeJ]            // coord1 < size1
s_and_b64 s[58:59], s[54:55], s[58:59]             // in0 && in1
_v_add_lshl_u32 v90, v3, v4, 0x3                   // scaleToBpe: accumulate d0 lower and *= bpe into Cin addr
v_cndmask_b32 v90, -1, v90, s[58:59]               // LDD clip if OOB. offset
/* (d1,vc1,d0,vc0)=(2,0,6,0) */
s_mov_b32 s54, 96                                  // coordOffset0 d0=6 vc0=0
_v_add_co_u32 v4, vcc, v0, s54                     // coord0.2: coord0 += d0*sg0*VW + vc0
v_cmp_lt_u32 s[54:55], v4, s[sgprSizeI]            // coord0 < size0
v_cmp_lt_u32 s[58:59], v1, s[sgprSizeJ]            // coord1 < size1
s_and_b64 s[58:59], s[54:55], s[58:59]             // in0 && in1
_v_add_lshl_u32 v94, v3, v4, 0x3                   // scaleToBpe: accumulate d0 lower and *= bpe into Cin addr
v_cndmask_b32 v94, -1, v94, s[58:59]               // LDD clip if OOB. offset
/* (d1,vc1,d0,vc0)=(2,0,7,0) */
s_mov_b32 s54, 112                                 // coordOffset0 d0=7 vc0=0
_v_add_co_u32 v4, vcc, v0, s54                     // coord0.2: coord0 += d0*sg0*VW + vc0
v_cmp_lt_u32 s[54:55], v4, s[sgprSizeI]            // coord0 < size0
v_cmp_lt_u32 s[58:59], v1, s[sgprSizeJ]            // coord1 < size1
s_and_b64 s[58:59], s[54:55], s[58:59]             // in0 && in1
_v_add_lshl_u32 v98, v3, v4, 0x3                   // scaleToBpe: accumulate d0 lower and *= bpe into Cin addr
v_cndmask_b32 v98, -1, v98, s[58:59]               // LDD clip if OOB. offset
/* (d1,vc1,d0,vc0)=(3,0,0,0) */
_v_add_co_u32 v1, vcc, v1, 4                       // coord1.1: coord1Vgpr += d1*sg1*VW + vc1

/* Fix for UseInitialStridesCD, emitAddressSetupCode */
s_mul_i32 s54, s[sgprStrideC1J], 4                 // scale stride
_v_add_u32 v2, v2, s54                             // ROWINC- Move cinRowPtr to next row
s_mul_i32 s54, s[sgprStrideD1J], 4                 // scale stride
_v_add_u32 v3, v3, s54                             // Move coutRowPtr to next row
v_cmp_lt_u32 s[54:55], v0, s[sgprSizeI]            // coord0 < size0
v_cmp_lt_u32 s[58:59], v1, s[sgprSizeJ]            // coord1 < size1
s_and_b64 s[58:59], s[54:55], s[58:59]             // in0 && in1
_v_add_lshl_u32 v102, v3, v0, 0x3                  // scaleToBpe: accumulate d0 lower and *= bpe into Cin addr
v_cndmask_b32 v102, -1, v102, s[58:59]             // LDD clip if OOB. offset
/* (d1,vc1,d0,vc0)=(3,0,1,0) */
_v_add_co_u32 v4, vcc, v0, 16                      // coord0.1: coord0 += d0*sg0*VW + vc0
v_cmp_lt_u32 s[54:55], v4, s[sgprSizeI]            // coord0 < size0
v_cmp_lt_u32 s[58:59], v1, s[sgprSizeJ]            // coord1 < size1
s_and_b64 s[58:59], s[54:55], s[58:59]             // in0 && in1
_v_add_lshl_u32 v106, v3, v4, 0x3                  // scaleToBpe: accumulate d0 lower and *= bpe into Cin addr
v_cndmask_b32 v106, -1, v106, s[58:59]             // LDD clip if OOB. offset
/* (d1,vc1,d0,vc0)=(3,0,2,0) */
_v_add_co_u32 v4, vcc, v0, 32                      // coord0.1: coord0 += d0*sg0*VW + vc0
v_cmp_lt_u32 s[54:55], v4, s[sgprSizeI]            // coord0 < size0
v_cmp_lt_u32 s[58:59], v1, s[sgprSizeJ]            // coord1 < size1
s_and_b64 s[58:59], s[54:55], s[58:59]             // in0 && in1
_v_add_lshl_u32 v110, v3, v4, 0x3                  // scaleToBpe: accumulate d0 lower and *= bpe into Cin addr
v_cndmask_b32 v110, -1, v110, s[58:59]             // LDD clip if OOB. offset
/* (d1,vc1,d0,vc0)=(3,0,3,0) */
_v_add_co_u32 v4, vcc, v0, 48                      // coord0.1: coord0 += d0*sg0*VW + vc0
v_cmp_lt_u32 s[54:55], v4, s[sgprSizeI]            // coord0 < size0
v_cmp_lt_u32 s[58:59], v1, s[sgprSizeJ]            // coord1 < size1
s_and_b64 s[58:59], s[54:55], s[58:59]             // in0 && in1
_v_add_lshl_u32 v114, v3, v4, 0x3                  // scaleToBpe: accumulate d0 lower and *= bpe into Cin addr
v_cndmask_b32 v114, -1, v114, s[58:59]             // LDD clip if OOB. offset
/* (d1,vc1,d0,vc0)=(3,0,4,0) */
_v_add_co_u32 v4, vcc, v0, 64                      // coord0.1: coord0 += d0*sg0*VW + vc0
v_cmp_lt_u32 s[54:55], v4, s[sgprSizeI]            // coord0 < size0
v_cmp_lt_u32 s[58:59], v1, s[sgprSizeJ]            // coord1 < size1
s_and_b64 s[58:59], s[54:55], s[58:59]             // in0 && in1
_v_add_lshl_u32 v118, v3, v4, 0x3                  // scaleToBpe: accumulate d0 lower and *= bpe into Cin addr
v_cndmask_b32 v118, -1, v118, s[58:59]             // LDD clip if OOB. offset
/* (d1,vc1,d0,vc0)=(3,0,5,0) */
s_mov_b32 s54, 80                                  // coordOffset0 d0=5 vc0=0
_v_add_co_u32 v4, vcc, v0, s54                     // coord0.2: coord0 += d0*sg0*VW + vc0
v_cmp_lt_u32 s[54:55], v4, s[sgprSizeI]            // coord0 < size0
v_cmp_lt_u32 s[58:59], v1, s[sgprSizeJ]            // coord1 < size1
s_and_b64 s[58:59], s[54:55], s[58:59]             // in0 && in1
_v_add_lshl_u32 v125, v3, v4, 0x3                  // scaleToBpe: accumulate d0 lower and *= bpe into Cin addr
v_cndmask_b32 v125, -1, v125, s[58:59]             // LDD clip if OOB. offset
/* (d1,vc1,d0,vc0)=(3,0,6,0) */
s_mov_b32 s54, 96                                  // coordOffset0 d0=6 vc0=0
_v_add_co_u32 v4, vcc, v0, s54                     // coord0.2: coord0 += d0*sg0*VW + vc0
v_cmp_lt_u32 s[54:55], v4, s[sgprSizeI]            // coord0 < size0
v_cmp_lt_u32 s[58:59], v1, s[sgprSizeJ]            // coord1 < size1
s_and_b64 s[58:59], s[54:55], s[58:59]             // in0 && in1
_v_add_lshl_u32 v127, v3, v4, 0x3                  // scaleToBpe: accumulate d0 lower and *= bpe into Cin addr
v_cndmask_b32 v127, -1, v127, s[58:59]             // LDD clip if OOB. offset
/* (d1,vc1,d0,vc0)=(3,0,7,0) */
s_mov_b32 s54, 112                                 // coordOffset0 d0=7 vc0=0
_v_add_co_u32 v4, vcc, v0, s54                     // coord0.2: coord0 += d0*sg0*VW + vc0
v_cmp_lt_u32 s[54:55], v4, s[sgprSizeI]            // coord0 < size0
v_cmp_lt_u32 s[58:59], v1, s[sgprSizeJ]            // coord1 < size1
s_and_b64 s[58:59], s[54:55], s[58:59]             // in0 && in1
_v_add_lshl_u32 v131, v3, v4, 0x3                  // scaleToBpe: accumulate d0 lower and *= bpe into Cin addr
v_cndmask_b32 v131, -1, v131, s[58:59]             // LDD clip if OOB. offset
/* (d1,vc1,d0,vc0)=(4,0,0,0) */
_v_add_co_u32 v1, vcc, v1, 52                      // coord1.1: coord1Vgpr += d1*sg1*VW + vc1

/* Fix for UseInitialStridesCD, emitAddressSetupCode */
s_mul_i32 s54, s[sgprStrideC1J], 52                // scale stride
_v_add_u32 v2, v2, s54                             // ROWINC- Move cinRowPtr to next row
s_mul_i32 s54, s[sgprStrideD1J], 52                // scale stride
_v_add_u32 v3, v3, s54                             // Move coutRowPtr to next row
v_cmp_lt_u32 s[54:55], v0, s[sgprSizeI]            // coord0 < size0
v_cmp_lt_u32 s[58:59], v1, s[sgprSizeJ]            // coord1 < size1
s_and_b64 s[58:59], s[54:55], s[58:59]             // in0 && in1
_v_add_lshl_u32 v135, v3, v0, 0x3                  // scaleToBpe: accumulate d0 lower and *= bpe into Cin addr
v_cndmask_b32 v135, -1, v135, s[58:59]             // LDD clip if OOB. offset
/* (d1,vc1,d0,vc0)=(4,0,1,0) */
_v_add_co_u32 v4, vcc, v0, 16                      // coord0.1: coord0 += d0*sg0*VW + vc0
v_cmp_lt_u32 s[54:55], v4, s[sgprSizeI]            // coord0 < size0
v_cmp_lt_u32 s[58:59], v1, s[sgprSizeJ]            // coord1 < size1
s_and_b64 s[58:59], s[54:55], s[58:59]             // in0 && in1
_v_add_lshl_u32 v139, v3, v4, 0x3                  // scaleToBpe: accumulate d0 lower and *= bpe into Cin addr
v_cndmask_b32 v139, -1, v139, s[58:59]             // LDD clip if OOB. offset
/* (d1,vc1,d0,vc0)=(4,0,2,0) */
_v_add_co_u32 v4, vcc, v0, 32                      // coord0.1: coord0 += d0*sg0*VW + vc0
	;; [unrolled: 7-line block ×4, first 2 shown]
v_cmp_lt_u32 s[54:55], v4, s[sgprSizeI]            // coord0 < size0
v_cmp_lt_u32 s[58:59], v1, s[sgprSizeJ]            // coord1 < size1
s_and_b64 s[58:59], s[54:55], s[58:59]             // in0 && in1
_v_add_lshl_u32 v151, v3, v4, 0x3                  // scaleToBpe: accumulate d0 lower and *= bpe into Cin addr
v_cndmask_b32 v151, -1, v151, s[58:59]             // LDD clip if OOB. offset
/* (d1,vc1,d0,vc0)=(4,0,5,0) */
s_mov_b32 s54, 80                                  // coordOffset0 d0=5 vc0=0
_v_add_co_u32 v4, vcc, v0, s54                     // coord0.2: coord0 += d0*sg0*VW + vc0
v_cmp_lt_u32 s[54:55], v4, s[sgprSizeI]            // coord0 < size0
v_cmp_lt_u32 s[58:59], v1, s[sgprSizeJ]            // coord1 < size1
s_and_b64 s[58:59], s[54:55], s[58:59]             // in0 && in1
_v_add_lshl_u32 v155, v3, v4, 0x3                  // scaleToBpe: accumulate d0 lower and *= bpe into Cin addr
v_cndmask_b32 v155, -1, v155, s[58:59]             // LDD clip if OOB. offset
/* (d1,vc1,d0,vc0)=(4,0,6,0) */
s_mov_b32 s54, 96                                  // coordOffset0 d0=6 vc0=0
_v_add_co_u32 v4, vcc, v0, s54                     // coord0.2: coord0 += d0*sg0*VW + vc0
v_cmp_lt_u32 s[54:55], v4, s[sgprSizeI]            // coord0 < size0
v_cmp_lt_u32 s[58:59], v1, s[sgprSizeJ]            // coord1 < size1
s_and_b64 s[58:59], s[54:55], s[58:59]             // in0 && in1
_v_add_lshl_u32 v159, v3, v4, 0x3                  // scaleToBpe: accumulate d0 lower and *= bpe into Cin addr
v_cndmask_b32 v159, -1, v159, s[58:59]             // LDD clip if OOB. offset
/* (d1,vc1,d0,vc0)=(4,0,7,0) */
s_mov_b32 s54, 112                                 // coordOffset0 d0=7 vc0=0
_v_add_co_u32 v4, vcc, v0, s54                     // coord0.2: coord0 += d0*sg0*VW + vc0
v_cmp_lt_u32 s[54:55], v4, s[sgprSizeI]            // coord0 < size0
v_cmp_lt_u32 s[58:59], v1, s[sgprSizeJ]            // coord1 < size1
s_and_b64 s[58:59], s[54:55], s[58:59]             // in0 && in1
_v_add_lshl_u32 v163, v3, v4, 0x3                  // scaleToBpe: accumulate d0 lower and *= bpe into Cin addr
v_cndmask_b32 v163, -1, v163, s[58:59]             // LDD clip if OOB. offset
/* (d1,vc1,d0,vc0)=(5,0,0,0) */
_v_add_co_u32 v1, vcc, v1, 4                       // coord1.1: coord1Vgpr += d1*sg1*VW + vc1

/* Fix for UseInitialStridesCD, emitAddressSetupCode */
s_mul_i32 s54, s[sgprStrideC1J], 4                 // scale stride
_v_add_u32 v2, v2, s54                             // ROWINC- Move cinRowPtr to next row
s_mul_i32 s54, s[sgprStrideD1J], 4                 // scale stride
_v_add_u32 v3, v3, s54                             // Move coutRowPtr to next row
v_cmp_lt_u32 s[54:55], v0, s[sgprSizeI]            // coord0 < size0
v_cmp_lt_u32 s[58:59], v1, s[sgprSizeJ]            // coord1 < size1
s_and_b64 s[58:59], s[54:55], s[58:59]             // in0 && in1
_v_add_lshl_u32 v167, v3, v0, 0x3                  // scaleToBpe: accumulate d0 lower and *= bpe into Cin addr
v_cndmask_b32 v167, -1, v167, s[58:59]             // LDD clip if OOB. offset
/* (d1,vc1,d0,vc0)=(5,0,1,0) */
_v_add_co_u32 v4, vcc, v0, 16                      // coord0.1: coord0 += d0*sg0*VW + vc0
v_cmp_lt_u32 s[54:55], v4, s[sgprSizeI]            // coord0 < size0
v_cmp_lt_u32 s[58:59], v1, s[sgprSizeJ]            // coord1 < size1
s_and_b64 s[58:59], s[54:55], s[58:59]             // in0 && in1
_v_add_lshl_u32 v171, v3, v4, 0x3                  // scaleToBpe: accumulate d0 lower and *= bpe into Cin addr
v_cndmask_b32 v171, -1, v171, s[58:59]             // LDD clip if OOB. offset
/* (d1,vc1,d0,vc0)=(5,0,2,0) */
_v_add_co_u32 v4, vcc, v0, 32                      // coord0.1: coord0 += d0*sg0*VW + vc0
v_cmp_lt_u32 s[54:55], v4, s[sgprSizeI]            // coord0 < size0
v_cmp_lt_u32 s[58:59], v1, s[sgprSizeJ]            // coord1 < size1
s_and_b64 s[58:59], s[54:55], s[58:59]             // in0 && in1
_v_add_lshl_u32 v175, v3, v4, 0x3                  // scaleToBpe: accumulate d0 lower and *= bpe into Cin addr
v_cndmask_b32 v175, -1, v175, s[58:59]             // LDD clip if OOB. offset
/* (d1,vc1,d0,vc0)=(5,0,3,0) */
_v_add_co_u32 v4, vcc, v0, 48                      // coord0.1: coord0 += d0*sg0*VW + vc0
v_cmp_lt_u32 s[54:55], v4, s[sgprSizeI]            // coord0 < size0
v_cmp_lt_u32 s[58:59], v1, s[sgprSizeJ]            // coord1 < size1
s_and_b64 s[58:59], s[54:55], s[58:59]             // in0 && in1
_v_add_lshl_u32 v179, v3, v4, 0x3                  // scaleToBpe: accumulate d0 lower and *= bpe into Cin addr
v_cndmask_b32 v179, -1, v179, s[58:59]             // LDD clip if OOB. offset
/* (d1,vc1,d0,vc0)=(5,0,4,0) */
_v_add_co_u32 v4, vcc, v0, 64                      // coord0.1: coord0 += d0*sg0*VW + vc0
v_cmp_lt_u32 s[54:55], v4, s[sgprSizeI]            // coord0 < size0
v_cmp_lt_u32 s[58:59], v1, s[sgprSizeJ]            // coord1 < size1
s_and_b64 s[58:59], s[54:55], s[58:59]             // in0 && in1
_v_add_lshl_u32 v183, v3, v4, 0x3                  // scaleToBpe: accumulate d0 lower and *= bpe into Cin addr
v_cndmask_b32 v183, -1, v183, s[58:59]             // LDD clip if OOB. offset
/* (d1,vc1,d0,vc0)=(5,0,5,0) */
s_mov_b32 s54, 80                                  // coordOffset0 d0=5 vc0=0
_v_add_co_u32 v4, vcc, v0, s54                     // coord0.2: coord0 += d0*sg0*VW + vc0
v_cmp_lt_u32 s[54:55], v4, s[sgprSizeI]            // coord0 < size0
v_cmp_lt_u32 s[58:59], v1, s[sgprSizeJ]            // coord1 < size1
s_and_b64 s[58:59], s[54:55], s[58:59]             // in0 && in1
_v_add_lshl_u32 v187, v3, v4, 0x3                  // scaleToBpe: accumulate d0 lower and *= bpe into Cin addr
v_cndmask_b32 v187, -1, v187, s[58:59]             // LDD clip if OOB. offset
/* (d1,vc1,d0,vc0)=(5,0,6,0) */
s_mov_b32 s54, 96                                  // coordOffset0 d0=6 vc0=0
_v_add_co_u32 v4, vcc, v0, s54                     // coord0.2: coord0 += d0*sg0*VW + vc0
v_cmp_lt_u32 s[54:55], v4, s[sgprSizeI]            // coord0 < size0
v_cmp_lt_u32 s[58:59], v1, s[sgprSizeJ]            // coord1 < size1
s_and_b64 s[58:59], s[54:55], s[58:59]             // in0 && in1
_v_add_lshl_u32 v191, v3, v4, 0x3                  // scaleToBpe: accumulate d0 lower and *= bpe into Cin addr
v_cndmask_b32 v191, -1, v191, s[58:59]             // LDD clip if OOB. offset
/* (d1,vc1,d0,vc0)=(5,0,7,0) */
s_mov_b32 s54, 112                                 // coordOffset0 d0=7 vc0=0
_v_add_co_u32 v4, vcc, v0, s54                     // coord0.2: coord0 += d0*sg0*VW + vc0
v_cmp_lt_u32 s[54:55], v4, s[sgprSizeI]            // coord0 < size0
v_cmp_lt_u32 s[58:59], v1, s[sgprSizeJ]            // coord1 < size1
s_and_b64 s[58:59], s[54:55], s[58:59]             // in0 && in1
_v_add_lshl_u32 v195, v3, v4, 0x3                  // scaleToBpe: accumulate d0 lower and *= bpe into Cin addr
v_cndmask_b32 v195, -1, v195, s[58:59]             // LDD clip if OOB. offset
/* (d1,vc1,d0,vc0)=(6,0,0,0) */
_v_add_co_u32 v1, vcc, v1, 4                       // coord1.1: coord1Vgpr += d1*sg1*VW + vc1

/* Fix for UseInitialStridesCD, emitAddressSetupCode */
s_mul_i32 s54, s[sgprStrideC1J], 4                 // scale stride
_v_add_u32 v2, v2, s54                             // ROWINC- Move cinRowPtr to next row
s_mul_i32 s54, s[sgprStrideD1J], 4                 // scale stride
_v_add_u32 v3, v3, s54                             // Move coutRowPtr to next row
v_cmp_lt_u32 s[54:55], v0, s[sgprSizeI]            // coord0 < size0
v_cmp_lt_u32 s[58:59], v1, s[sgprSizeJ]            // coord1 < size1
s_and_b64 s[58:59], s[54:55], s[58:59]             // in0 && in1
_v_add_lshl_u32 v199, v3, v0, 0x3                  // scaleToBpe: accumulate d0 lower and *= bpe into Cin addr
v_cndmask_b32 v199, -1, v199, s[58:59]             // LDD clip if OOB. offset
/* (d1,vc1,d0,vc0)=(6,0,1,0) */
_v_add_co_u32 v4, vcc, v0, 16                      // coord0.1: coord0 += d0*sg0*VW + vc0
v_cmp_lt_u32 s[54:55], v4, s[sgprSizeI]            // coord0 < size0
v_cmp_lt_u32 s[58:59], v1, s[sgprSizeJ]            // coord1 < size1
s_and_b64 s[58:59], s[54:55], s[58:59]             // in0 && in1
_v_add_lshl_u32 v203, v3, v4, 0x3                  // scaleToBpe: accumulate d0 lower and *= bpe into Cin addr
v_cndmask_b32 v203, -1, v203, s[58:59]             // LDD clip if OOB. offset
/* (d1,vc1,d0,vc0)=(6,0,2,0) */
_v_add_co_u32 v4, vcc, v0, 32                      // coord0.1: coord0 += d0*sg0*VW + vc0
	;; [unrolled: 7-line block ×4, first 2 shown]
v_cmp_lt_u32 s[54:55], v4, s[sgprSizeI]            // coord0 < size0
v_cmp_lt_u32 s[58:59], v1, s[sgprSizeJ]            // coord1 < size1
s_and_b64 s[58:59], s[54:55], s[58:59]             // in0 && in1
_v_add_lshl_u32 v215, v3, v4, 0x3                  // scaleToBpe: accumulate d0 lower and *= bpe into Cin addr
v_cndmask_b32 v215, -1, v215, s[58:59]             // LDD clip if OOB. offset
/* (d1,vc1,d0,vc0)=(6,0,5,0) */
s_mov_b32 s54, 80                                  // coordOffset0 d0=5 vc0=0
_v_add_co_u32 v4, vcc, v0, s54                     // coord0.2: coord0 += d0*sg0*VW + vc0
v_cmp_lt_u32 s[54:55], v4, s[sgprSizeI]            // coord0 < size0
v_cmp_lt_u32 s[58:59], v1, s[sgprSizeJ]            // coord1 < size1
s_and_b64 s[58:59], s[54:55], s[58:59]             // in0 && in1
_v_add_lshl_u32 v219, v3, v4, 0x3                  // scaleToBpe: accumulate d0 lower and *= bpe into Cin addr
v_cndmask_b32 v219, -1, v219, s[58:59]             // LDD clip if OOB. offset
/* (d1,vc1,d0,vc0)=(6,0,6,0) */
s_mov_b32 s54, 96                                  // coordOffset0 d0=6 vc0=0
_v_add_co_u32 v4, vcc, v0, s54                     // coord0.2: coord0 += d0*sg0*VW + vc0
v_cmp_lt_u32 s[54:55], v4, s[sgprSizeI]            // coord0 < size0
v_cmp_lt_u32 s[58:59], v1, s[sgprSizeJ]            // coord1 < size1
s_and_b64 s[58:59], s[54:55], s[58:59]             // in0 && in1
_v_add_lshl_u32 v223, v3, v4, 0x3                  // scaleToBpe: accumulate d0 lower and *= bpe into Cin addr
v_cndmask_b32 v223, -1, v223, s[58:59]             // LDD clip if OOB. offset
/* (d1,vc1,d0,vc0)=(6,0,7,0) */
s_mov_b32 s54, 112                                 // coordOffset0 d0=7 vc0=0
_v_add_co_u32 v4, vcc, v0, s54                     // coord0.2: coord0 += d0*sg0*VW + vc0
v_cmp_lt_u32 s[54:55], v4, s[sgprSizeI]            // coord0 < size0
v_cmp_lt_u32 s[58:59], v1, s[sgprSizeJ]            // coord1 < size1
s_and_b64 s[58:59], s[54:55], s[58:59]             // in0 && in1
_v_add_lshl_u32 v227, v3, v4, 0x3                  // scaleToBpe: accumulate d0 lower and *= bpe into Cin addr
v_cndmask_b32 v227, -1, v227, s[58:59]             // LDD clip if OOB. offset
/* (d1,vc1,d0,vc0)=(7,0,0,0) */
_v_add_co_u32 v1, vcc, v1, 4                       // coord1.1: coord1Vgpr += d1*sg1*VW + vc1

/* Fix for UseInitialStridesCD, emitAddressSetupCode */
s_mul_i32 s54, s[sgprStrideC1J], 4                 // scale stride
_v_add_u32 v2, v2, s54                             // ROWINC- Move cinRowPtr to next row
s_mul_i32 s54, s[sgprStrideD1J], 4                 // scale stride
_v_add_u32 v3, v3, s54                             // Move coutRowPtr to next row
v_cmp_lt_u32 s[54:55], v0, s[sgprSizeI]            // coord0 < size0
v_cmp_lt_u32 s[58:59], v1, s[sgprSizeJ]            // coord1 < size1
s_and_b64 s[58:59], s[54:55], s[58:59]             // in0 && in1
_v_add_lshl_u32 v231, v3, v0, 0x3                  // scaleToBpe: accumulate d0 lower and *= bpe into Cin addr
v_cndmask_b32 v231, -1, v231, s[58:59]             // LDD clip if OOB. offset
/* (d1,vc1,d0,vc0)=(7,0,1,0) */
_v_add_co_u32 v4, vcc, v0, 16                      // coord0.1: coord0 += d0*sg0*VW + vc0
v_cmp_lt_u32 s[54:55], v4, s[sgprSizeI]            // coord0 < size0
v_cmp_lt_u32 s[58:59], v1, s[sgprSizeJ]            // coord1 < size1
s_and_b64 s[58:59], s[54:55], s[58:59]             // in0 && in1
_v_add_lshl_u32 v235, v3, v4, 0x3                  // scaleToBpe: accumulate d0 lower and *= bpe into Cin addr
v_cndmask_b32 v235, -1, v235, s[58:59]             // LDD clip if OOB. offset
/* (d1,vc1,d0,vc0)=(7,0,2,0) */
_v_add_co_u32 v4, vcc, v0, 32                      // coord0.1: coord0 += d0*sg0*VW + vc0
v_cmp_lt_u32 s[54:55], v4, s[sgprSizeI]            // coord0 < size0
v_cmp_lt_u32 s[58:59], v1, s[sgprSizeJ]            // coord1 < size1
s_and_b64 s[58:59], s[54:55], s[58:59]             // in0 && in1
_v_add_lshl_u32 v239, v3, v4, 0x3                  // scaleToBpe: accumulate d0 lower and *= bpe into Cin addr
v_cndmask_b32 v239, -1, v239, s[58:59]             // LDD clip if OOB. offset
/* (d1,vc1,d0,vc0)=(7,0,3,0) */
_v_add_co_u32 v4, vcc, v0, 48                      // coord0.1: coord0 += d0*sg0*VW + vc0
v_cmp_lt_u32 s[54:55], v4, s[sgprSizeI]            // coord0 < size0
v_cmp_lt_u32 s[58:59], v1, s[sgprSizeJ]            // coord1 < size1
s_and_b64 s[58:59], s[54:55], s[58:59]             // in0 && in1
_v_add_lshl_u32 v243, v3, v4, 0x3                  // scaleToBpe: accumulate d0 lower and *= bpe into Cin addr
v_cndmask_b32 v243, -1, v243, s[58:59]             // LDD clip if OOB. offset
/* (d1,vc1,d0,vc0)=(7,0,4,0) */
_v_add_co_u32 v4, vcc, v0, 64                      // coord0.1: coord0 += d0*sg0*VW + vc0
v_cmp_lt_u32 s[54:55], v4, s[sgprSizeI]            // coord0 < size0
v_cmp_lt_u32 s[58:59], v1, s[sgprSizeJ]            // coord1 < size1
s_and_b64 s[58:59], s[54:55], s[58:59]             // in0 && in1
_v_add_lshl_u32 v247, v3, v4, 0x3                  // scaleToBpe: accumulate d0 lower and *= bpe into Cin addr
v_cndmask_b32 v247, -1, v247, s[58:59]             // LDD clip if OOB. offset
v_accvgpr_read_b32 v[vgprValuC+8], acc0 // copy acc to vreg[0]
v_accvgpr_read_b32 v[vgprValuC+9], acc1 // copy acc to vreg[1]
v_accvgpr_read_b32 v[vgprValuC+12], acc8 // copy acc to vreg[2]
v_accvgpr_read_b32 v[vgprValuC+13], acc9 // copy acc to vreg[3]
v_accvgpr_read_b32 v[vgprValuC+16], acc16 // copy acc to vreg[4]
v_accvgpr_read_b32 v[vgprValuC+17], acc17 // copy acc to vreg[5]
v_accvgpr_read_b32 v[vgprValuC+20], acc24 // copy acc to vreg[6]
v_accvgpr_read_b32 v[vgprValuC+21], acc25 // copy acc to vreg[7]
v_accvgpr_read_b32 v[vgprValuC+24], acc32 // copy acc to vreg[8]
v_accvgpr_read_b32 v[vgprValuC+25], acc33 // copy acc to vreg[9]
v_accvgpr_read_b32 v[vgprValuC+28], acc40 // copy acc to vreg[10]
v_accvgpr_read_b32 v[vgprValuC+29], acc41 // copy acc to vreg[11]
v_accvgpr_read_b32 v[vgprValuC+32], acc48 // copy acc to vreg[12]
v_accvgpr_read_b32 v[vgprValuC+33], acc49 // copy acc to vreg[13]
v_accvgpr_read_b32 v[vgprValuC+36], acc56 // copy acc to vreg[14]
v_accvgpr_read_b32 v[vgprValuC+37], acc57 // copy acc to vreg[15]
v_accvgpr_read_b32 v[vgprValuC+40], acc2 // copy acc to vreg[16]
v_accvgpr_read_b32 v[vgprValuC+41], acc3 // copy acc to vreg[17]
v_accvgpr_read_b32 v[vgprValuC+44], acc10 // copy acc to vreg[18]
v_accvgpr_read_b32 v[vgprValuC+45], acc11 // copy acc to vreg[19]
v_accvgpr_read_b32 v[vgprValuC+48], acc18 // copy acc to vreg[20]
v_accvgpr_read_b32 v[vgprValuC+49], acc19 // copy acc to vreg[21]
v_accvgpr_read_b32 v[vgprValuC+52], acc26 // copy acc to vreg[22]
v_accvgpr_read_b32 v[vgprValuC+53], acc27 // copy acc to vreg[23]
v_accvgpr_read_b32 v[vgprValuC+56], acc34 // copy acc to vreg[24]
v_accvgpr_read_b32 v[vgprValuC+57], acc35 // copy acc to vreg[25]
v_accvgpr_read_b32 v[vgprValuC+60], acc42 // copy acc to vreg[26]
v_accvgpr_read_b32 v[vgprValuC+61], acc43 // copy acc to vreg[27]
v_accvgpr_read_b32 v[vgprValuC+64], acc50 // copy acc to vreg[28]
v_accvgpr_read_b32 v[vgprValuC+65], acc51 // copy acc to vreg[29]
v_accvgpr_read_b32 v[vgprValuC+68], acc58 // copy acc to vreg[30]
v_accvgpr_read_b32 v[vgprValuC+69], acc59 // copy acc to vreg[31]
v_accvgpr_read_b32 v[vgprValuC+72], acc4 // copy acc to vreg[32]
v_accvgpr_read_b32 v[vgprValuC+73], acc5 // copy acc to vreg[33]
v_accvgpr_read_b32 v[vgprValuC+76], acc12 // copy acc to vreg[34]
v_accvgpr_read_b32 v[vgprValuC+77], acc13 // copy acc to vreg[35]
v_accvgpr_read_b32 v[vgprValuC+80], acc20 // copy acc to vreg[36]
v_accvgpr_read_b32 v[vgprValuC+81], acc21 // copy acc to vreg[37]
v_accvgpr_read_b32 v[vgprValuC+84], acc28 // copy acc to vreg[38]
v_accvgpr_read_b32 v[vgprValuC+85], acc29 // copy acc to vreg[39]
v_accvgpr_read_b32 v[vgprValuC+88], acc36 // copy acc to vreg[40]
v_accvgpr_read_b32 v[vgprValuC+89], acc37 // copy acc to vreg[41]
v_accvgpr_read_b32 v[vgprValuC+92], acc44 // copy acc to vreg[42]
v_accvgpr_read_b32 v[vgprValuC+93], acc45 // copy acc to vreg[43]
v_accvgpr_read_b32 v[vgprValuC+96], acc52 // copy acc to vreg[44]
v_accvgpr_read_b32 v[vgprValuC+97], acc53 // copy acc to vreg[45]
v_accvgpr_read_b32 v[vgprValuC+100], acc60 // copy acc to vreg[46]
v_accvgpr_read_b32 v[vgprValuC+101], acc61 // copy acc to vreg[47]
v_accvgpr_read_b32 v[vgprValuC+104], acc6 // copy acc to vreg[48]
v_accvgpr_read_b32 v[vgprValuC+105], acc7 // copy acc to vreg[49]
v_accvgpr_read_b32 v[vgprValuC+108], acc14 // copy acc to vreg[50]
v_accvgpr_read_b32 v[vgprValuC+109], acc15 // copy acc to vreg[51]
v_accvgpr_read_b32 v[vgprValuC+112], acc22 // copy acc to vreg[52]
v_accvgpr_read_b32 v[vgprValuC+113], acc23 // copy acc to vreg[53]
v_accvgpr_read_b32 v[vgprValuC+116], acc30 // copy acc to vreg[54]
v_accvgpr_read_b32 v[vgprValuC+117], acc31 // copy acc to vreg[55]
v_accvgpr_read_b32 v[vgprValuC+120], acc38 // copy acc to vreg[56]
v_accvgpr_read_b32 v[vgprValuC+121], acc39 // copy acc to vreg[57]
v_accvgpr_read_b32 v[vgprValuC+128], acc46 // copy acc to vreg[58]
v_accvgpr_read_b32 v[vgprValuC+129], acc47 // copy acc to vreg[59]
v_accvgpr_read_b32 v[vgprValuC+132], acc54 // copy acc to vreg[60]
v_accvgpr_read_b32 v[vgprValuC+133], acc55 // copy acc to vreg[61]
v_accvgpr_read_b32 v[vgprValuC+136], acc62 // copy acc to vreg[62]
v_accvgpr_read_b32 v[vgprValuC+137], acc63 // copy acc to vreg[63]
v_accvgpr_read_b32 v[vgprValuC+140], acc64 // copy acc to vreg[64]
v_accvgpr_read_b32 v[vgprValuC+141], acc65 // copy acc to vreg[65]
v_accvgpr_read_b32 v[vgprValuC+144], acc72 // copy acc to vreg[66]
v_accvgpr_read_b32 v[vgprValuC+145], acc73 // copy acc to vreg[67]
v_accvgpr_read_b32 v[vgprValuC+148], acc80 // copy acc to vreg[68]
v_accvgpr_read_b32 v[vgprValuC+149], acc81 // copy acc to vreg[69]
v_accvgpr_read_b32 v[vgprValuC+152], acc88 // copy acc to vreg[70]
v_accvgpr_read_b32 v[vgprValuC+153], acc89 // copy acc to vreg[71]
v_accvgpr_read_b32 v[vgprValuC+156], acc96 // copy acc to vreg[72]
v_accvgpr_read_b32 v[vgprValuC+157], acc97 // copy acc to vreg[73]
v_accvgpr_read_b32 v[vgprValuC+160], acc104 // copy acc to vreg[74]
v_accvgpr_read_b32 v[vgprValuC+161], acc105 // copy acc to vreg[75]
v_accvgpr_read_b32 v[vgprValuC+164], acc112 // copy acc to vreg[76]
v_accvgpr_read_b32 v[vgprValuC+165], acc113 // copy acc to vreg[77]
v_accvgpr_read_b32 v[vgprValuC+168], acc120 // copy acc to vreg[78]
v_accvgpr_read_b32 v[vgprValuC+169], acc121 // copy acc to vreg[79]
v_accvgpr_read_b32 v[vgprValuC+172], acc66 // copy acc to vreg[80]
v_accvgpr_read_b32 v[vgprValuC+173], acc67 // copy acc to vreg[81]
v_accvgpr_read_b32 v[vgprValuC+176], acc74 // copy acc to vreg[82]
v_accvgpr_read_b32 v[vgprValuC+177], acc75 // copy acc to vreg[83]
v_accvgpr_read_b32 v[vgprValuC+180], acc82 // copy acc to vreg[84]
v_accvgpr_read_b32 v[vgprValuC+181], acc83 // copy acc to vreg[85]
v_accvgpr_read_b32 v[vgprValuC+184], acc90 // copy acc to vreg[86]
v_accvgpr_read_b32 v[vgprValuC+185], acc91 // copy acc to vreg[87]
v_accvgpr_read_b32 v[vgprValuC+188], acc98 // copy acc to vreg[88]
v_accvgpr_read_b32 v[vgprValuC+189], acc99 // copy acc to vreg[89]
v_accvgpr_read_b32 v[vgprValuC+192], acc106 // copy acc to vreg[90]
v_accvgpr_read_b32 v[vgprValuC+193], acc107 // copy acc to vreg[91]
v_accvgpr_read_b32 v[vgprValuC+196], acc114 // copy acc to vreg[92]
v_accvgpr_read_b32 v[vgprValuC+197], acc115 // copy acc to vreg[93]
v_accvgpr_read_b32 v[vgprValuC+200], acc122 // copy acc to vreg[94]
v_accvgpr_read_b32 v[vgprValuC+201], acc123 // copy acc to vreg[95]
v_accvgpr_read_b32 v[vgprValuC+204], acc68 // copy acc to vreg[96]
v_accvgpr_read_b32 v[vgprValuC+205], acc69 // copy acc to vreg[97]
v_accvgpr_read_b32 v[vgprValuC+208], acc76 // copy acc to vreg[98]
v_accvgpr_read_b32 v[vgprValuC+209], acc77 // copy acc to vreg[99]
v_accvgpr_read_b32 v[vgprValuC+212], acc84 // copy acc to vreg[100]
v_accvgpr_read_b32 v[vgprValuC+213], acc85 // copy acc to vreg[101]
v_accvgpr_read_b32 v[vgprValuC+216], acc92 // copy acc to vreg[102]
v_accvgpr_read_b32 v[vgprValuC+217], acc93 // copy acc to vreg[103]
v_accvgpr_read_b32 v[vgprValuC+220], acc100 // copy acc to vreg[104]
v_accvgpr_read_b32 v[vgprValuC+221], acc101 // copy acc to vreg[105]
v_accvgpr_read_b32 v[vgprValuC+224], acc108 // copy acc to vreg[106]
v_accvgpr_read_b32 v[vgprValuC+225], acc109 // copy acc to vreg[107]
v_accvgpr_read_b32 v[vgprValuC+228], acc116 // copy acc to vreg[108]
v_accvgpr_read_b32 v[vgprValuC+229], acc117 // copy acc to vreg[109]
v_accvgpr_read_b32 v[vgprValuC+232], acc124 // copy acc to vreg[110]
v_accvgpr_read_b32 v[vgprValuC+233], acc125 // copy acc to vreg[111]
v_accvgpr_read_b32 v[vgprValuC+236], acc70 // copy acc to vreg[112]
v_accvgpr_read_b32 v[vgprValuC+237], acc71 // copy acc to vreg[113]
v_accvgpr_read_b32 v[vgprValuC+240], acc78 // copy acc to vreg[114]
v_accvgpr_read_b32 v[vgprValuC+241], acc79 // copy acc to vreg[115]
v_accvgpr_read_b32 v[vgprValuC+244], acc86 // copy acc to vreg[116]
v_accvgpr_read_b32 v[vgprValuC+245], acc87 // copy acc to vreg[117]
v_accvgpr_read_b32 v[vgprValuC+248], acc94 // copy acc to vreg[118]
v_accvgpr_read_b32 v[vgprValuC+249], acc95 // copy acc to vreg[119]
v_accvgpr_read_b32 v[vgprValuC+252], acc102 // copy acc to vreg[120]
v_accvgpr_read_b32 v[vgprValuC+253], acc103 // copy acc to vreg[121]
s_nop 1                                            // 2 wait states required before reading vgpr

/* rC *= alpha batchElements=[(0, 0, 0, 0), (0, 1, 0, 0), (0, 2, 0, 0), (0, 3, 0, 0), (0, 4, 0, 0), (0, 5, 0, 0), (0, 6, 0, 0), (0, 7, 0, 0), (1, 0, 0, 0), (1, 1, 0, 0), (1, 2, 0, 0), (1, 3, 0, 0), (1, 4, 0, 0), (1, 5, 0, 0), (1, 6, 0, 0), (1, 7, 0, 0), (2, 0, 0, 0), (2, 1, 0, 0), (2, 2, 0, 0), (2, 3, 0, 0), (2, 4, 0, 0), (2, 5, 0, 0), (2, 6, 0, 0), (2, 7, 0, 0), (3, 0, 0, 0), (3, 1, 0, 0), (3, 2, 0, 0), (3, 3, 0, 0), (3, 4, 0, 0), (3, 5, 0, 0), (3, 6, 0, 0), (3, 7, 0, 0), (4, 0, 0, 0), (4, 1, 0, 0), (4, 2, 0, 0), (4, 3, 0, 0), (4, 4, 0, 0), (4, 5, 0, 0), (4, 6, 0, 0), (4, 7, 0, 0), (5, 0, 0, 0), (5, 1, 0, 0), (5, 2, 0, 0), (5, 3, 0, 0), (5, 4, 0, 0), (5, 5, 0, 0), (5, 6, 0, 0), (5, 7, 0, 0), (6, 0, 0, 0), (6, 1, 0, 0), (6, 2, 0, 0), (6, 3, 0, 0), (6, 4, 0, 0), (6, 5, 0, 0), (6, 6, 0, 0), (6, 7, 0, 0), (7, 0, 0, 0), (7, 1, 0, 0), (7, 2, 0, 0), (7, 3, 0, 0), (7, 4, 0, 0)] */
v_mul_f64 v[vgprValuC+8:vgprValuC+8+1], s[sgprAlpha:sgprAlpha+1], v[vgprValuC+8:vgprValuC+8+1] // *= alpha
v_mul_f64 v[vgprValuC+12:vgprValuC+12+1], s[sgprAlpha:sgprAlpha+1], v[vgprValuC+12:vgprValuC+12+1] // *= alpha
	;; [unrolled: 1-line block ×61, first 2 shown]

/* apply mask, calc new C and issue writes */
_buffer_store_b64 v[8:9], v6, s[sgprSrdD:sgprSrdD+3], 0, offen, offset:0,  sc0 sc1 // store D
_buffer_store_b64 v[12:13], v10, s[sgprSrdD:sgprSrdD+3], 0, offen, offset:0,  sc0 sc1 // store D
	;; [unrolled: 1-line block ×61, first 2 shown]
s_nop 0                                            // 1 wait state required when next inst writes vgprs held by previous dwordx4 store inst
/* optSingleColVgpr=0 optSharedColVgpr=0 optSGPRUsage=BufferLoad_Edge_Mask optSrdIncForRow=0 */
s_sleep 7 // optimization: sync and wait
s_barrier

/******************************************/
/* Global Write Alpha Edge Batch #1 (d1,d0,vc1,vc0) = */
/*    (7,5,0,0:vw1); (7,6,0,0:vw1); (7,7,0,0:vw1) */
/******************************************/

/* calc coords, apply mask, and issue loads (if necessary) */
/* (d1,vc1,d0,vc0)=(7,0,5,0) */
s_mov_b32 s54, 80                                  // coordOffset0 d0=5 vc0=0
_v_add_co_u32 v4, vcc, v0, s54                     // coord0.2: coord0 += d0*sg0*VW + vc0
v_cmp_lt_u32 s[54:55], v4, s[sgprSizeI]            // coord0 < size0
v_cmp_lt_u32 s[58:59], v1, s[sgprSizeJ]            // coord1 < size1
s_and_b64 s[58:59], s[54:55], s[58:59]             // in0 && in1
_v_add_lshl_u32 v6, v3, v4, 0x3                    // scaleToBpe: accumulate d0 lower and *= bpe into Cin addr
v_cndmask_b32 v6, -1, v6, s[58:59]                 // LDD clip if OOB. offset
/* (d1,vc1,d0,vc0)=(7,0,6,0) */
s_mov_b32 s54, 96                                  // coordOffset0 d0=6 vc0=0
_v_add_co_u32 v4, vcc, v0, s54                     // coord0.2: coord0 += d0*sg0*VW + vc0
v_cmp_lt_u32 s[54:55], v4, s[sgprSizeI]            // coord0 < size0
v_cmp_lt_u32 s[58:59], v1, s[sgprSizeJ]            // coord1 < size1
s_and_b64 s[58:59], s[54:55], s[58:59]             // in0 && in1
_v_add_lshl_u32 v10, v3, v4, 0x3                   // scaleToBpe: accumulate d0 lower and *= bpe into Cin addr
v_cndmask_b32 v10, -1, v10, s[58:59]               // LDD clip if OOB. offset
/* (d1,vc1,d0,vc0)=(7,0,7,0) */
s_mov_b32 s54, 112                                 // coordOffset0 d0=7 vc0=0
_v_add_co_u32 v4, vcc, v0, s54                     // coord0.2: coord0 += d0*sg0*VW + vc0
v_cmp_lt_u32 s[54:55], v4, s[sgprSizeI]            // coord0 < size0
v_cmp_lt_u32 s[58:59], v1, s[sgprSizeJ]            // coord1 < size1
s_and_b64 s[58:59], s[54:55], s[58:59]             // in0 && in1
_v_add_lshl_u32 v14, v3, v4, 0x3                   // scaleToBpe: accumulate d0 lower and *= bpe into Cin addr
v_cndmask_b32 v14, -1, v14, s[58:59]               // LDD clip if OOB. offset
v_accvgpr_read_b32 v[vgprValuC+8], acc110 // copy acc to vreg[122]
v_accvgpr_read_b32 v[vgprValuC+9], acc111 // copy acc to vreg[123]
v_accvgpr_read_b32 v[vgprValuC+12], acc118 // copy acc to vreg[124]
v_accvgpr_read_b32 v[vgprValuC+13], acc119 // copy acc to vreg[125]
v_accvgpr_read_b32 v[vgprValuC+16], acc126 // copy acc to vreg[126]
v_accvgpr_read_b32 v[vgprValuC+17], acc127 // copy acc to vreg[127]
s_nop 1                                            // 2 wait states required before reading vgpr

/* rC *= alpha batchElements=[(7, 5, 0, 0), (7, 6, 0, 0), (7, 7, 0, 0)] */
v_mul_f64 v[vgprValuC+8:vgprValuC+8+1], s[sgprAlpha:sgprAlpha+1], v[vgprValuC+8:vgprValuC+8+1] // *= alpha
v_mul_f64 v[vgprValuC+12:vgprValuC+12+1], s[sgprAlpha:sgprAlpha+1], v[vgprValuC+12:vgprValuC+12+1] // *= alpha
	;; [unrolled: 1-line block ×3, first 2 shown]

/* apply mask, calc new C and issue writes */
_buffer_store_b64 v[8:9], v6, s[sgprSrdD:sgprSrdD+3], 0, offen, offset:0,  sc0 sc1 // store D
_buffer_store_b64 v[12:13], v10, s[sgprSrdD:sgprSrdD+3], 0, offen, offset:0,  sc0 sc1 // store D
	;; [unrolled: 1-line block ×3, first 2 shown]
s_nop 0                                            // 1 wait state required when next inst writes vgprs held by previous dwordx4 store inst
s_branch label_GW_End_78                           // jump to end
GW_Beta_79:
s_and_b32 s32, 127, s[sgprSizeI]                   // s32 = s[sgprSizeI] % 128
s_add_u32 s33, -0x1, s[sgprNumWorkGroups0]         // 
s_cmp_ge_u32 s[sgprWorkGroup0], s33                // wg0 >= nwg0-1 ?
s_cselect_b32 s32, s32, 0                          // set rMT0
s_cmpk_gt_u32 s32, 0x0                             // rMT0 > 0
s_cbranch_scc1 GW_B1_E1_77                         // jump if edges required
s_and_b32 s32, 127, s[sgprSizeJ]                   // s32 = s[sgprSizeJ] % 128
s_add_u32 s33, -0x1, s[sgprNumWorkGroups1]         // 
s_cmp_ge_u32 s[sgprWorkGroup1], s33                // wg1 >= nwg1-1
s_cselect_b32 s32, s32, 0                          // set rMT1
s_cmpk_gt_u32 s32, 0x0                             // rMT1 > 0
s_cbranch_scc1 GW_B1_E1_77                         // jump if edges required
GW_B1_E0_74:

/* edge=0, allocate 2 sgpr. perBatchTmpS=2 perBatchMaskS=0 perElementMaskS=0 elementsPerBatch=60 */
/* optSingleColVgpr=1 optSharedColVgpr=0 optSGPRUsage=BufferLoad_Mask optSrdIncForRow=1 */
s_sleep 7 // optimization: sync and wait
s_barrier

/******************************************/
/* Global Write Alpha Beta Batch #0 (d1,d0,vc1,vc0) = */
/*    (0,0,0,0:vw1); (0,1,0,0:vw1); (0,2,0,0:vw1); (0,3,0,0:vw1); (0,4,0,0:vw1); (0,5,0,0:vw1); (0,6,0,0:vw1); (0,7,0,0:vw1); (1,0,0,0:vw1); (1,1,0,0:vw1); (1,2,0,0:vw1); (1,3,0,0:vw1); (1,4,0,0:vw1); (1,5,0,0:vw1); (1,6,0,0:vw1); (1,7,0,0:vw1); (2,0,0,0:vw1); (2,1,0,0:vw1); (2,2,0,0:vw1); (2,3,0,0:vw1); (2,4,0,0:vw1); (2,5,0,0:vw1); (2,6,0,0:vw1); (2,7,0,0:vw1); (3,0,0,0:vw1); (3,1,0,0:vw1); (3,2,0,0:vw1); (3,3,0,0:vw1); (3,4,0,0:vw1); (3,5,0,0:vw1); (3,6,0,0:vw1); (3,7,0,0:vw1); (4,0,0,0:vw1); (4,1,0,0:vw1); (4,2,0,0:vw1); (4,3,0,0:vw1); (4,4,0,0:vw1); (4,5,0,0:vw1); (4,6,0,0:vw1); (4,7,0,0:vw1); (5,0,0,0:vw1); (5,1,0,0:vw1); (5,2,0,0:vw1); (5,3,0,0:vw1); (5,4,0,0:vw1); (5,5,0,0:vw1); (5,6,0,0:vw1); (5,7,0,0:vw1); (6,0,0,0:vw1); (6,1,0,0:vw1); (6,2,0,0:vw1); (6,3,0,0:vw1); (6,4,0,0:vw1); (6,5,0,0:vw1); (6,6,0,0:vw1); (6,7,0,0:vw1); (7,0,0,0:vw1); (7,1,0,0:vw1); (7,2,0,0:vw1); (7,3,0,0:vw1) */
/******************************************/

/* calc coords, apply mask, and issue loads (if necessary) */
/* (d1,vc1,d0,vc0)=(0,0,0,0) */
_v_add_lshl_u32 v7, v2, v0, 0x3                    // optSingleColVgpr scaleToBpe: sharedAddrVgpr <- cinRowPtr + coord0, scaled by BPE. BSHERE:coord0=0, coord0Vgpr=0
/* (d1,vc1,d0,vc0)=(0,0,1,0) */
/* (d1,vc1,d0,vc0)=(0,0,2,0) */
	;; [unrolled: 1-line block ×59, first 2 shown]
_v_add_lshl_u32 v6, v3, v0, 0x3                    // optSingleColVgpr scaleToBpe: sharedAddrVgpr <- cinRowPtr + coord0, scaled by BPE. BSHERE:coord0=0, coord0Vgpr=0
_buffer_load_b64 v[8:9], v7, s[sgprSrdC:sgprSrdC+3], 0, offen offset:0,  sc0 sc1 // load C for beta calc
_buffer_load_b64 v[12:13], v7, s[sgprSrdC:sgprSrdC+3], 0, offen offset:128,  sc0 sc1 // load C for beta calc
_buffer_load_b64 v[16:17], v7, s[sgprSrdC:sgprSrdC+3], 0, offen offset:256,  sc0 sc1 // load C for beta calc
_buffer_load_b64 v[20:21], v7, s[sgprSrdC:sgprSrdC+3], 0, offen offset:384,  sc0 sc1 // load C for beta calc
_buffer_load_b64 v[24:25], v7, s[sgprSrdC:sgprSrdC+3], 0, offen offset:512,  sc0 sc1 // load C for beta calc
_buffer_load_b64 v[28:29], v7, s[sgprSrdC:sgprSrdC+3], 0, offen offset:640,  sc0 sc1 // load C for beta calc
_buffer_load_b64 v[32:33], v7, s[sgprSrdC:sgprSrdC+3], 0, offen offset:768,  sc0 sc1 // load C for beta calc
_buffer_load_b64 v[36:37], v7, s[sgprSrdC:sgprSrdC+3], 0, offen offset:896,  sc0 sc1 // load C for beta calc
s_mul_i32 s32, s[sgprStrideC1J], 32                // scale StrideC *= numRows(4) * bpe
s_add_u32  s[sgprSrdC+0], s[sgprSrdC+0], s32       // incToNextRow: gra SRD += inc(lower)
s_addc_u32  s[sgprSrdC+1], s[sgprSrdC+1], 0        // incToNextRow: gra SRD += inc(upper)
_buffer_load_b64 v[40:41], v7, s[sgprSrdC:sgprSrdC+3], 0, offen offset:0,  sc0 sc1 // load C for beta calc
_buffer_load_b64 v[44:45], v7, s[sgprSrdC:sgprSrdC+3], 0, offen offset:128,  sc0 sc1 // load C for beta calc
_buffer_load_b64 v[48:49], v7, s[sgprSrdC:sgprSrdC+3], 0, offen offset:256,  sc0 sc1 // load C for beta calc
_buffer_load_b64 v[52:53], v7, s[sgprSrdC:sgprSrdC+3], 0, offen offset:384,  sc0 sc1 // load C for beta calc
_buffer_load_b64 v[56:57], v7, s[sgprSrdC:sgprSrdC+3], 0, offen offset:512,  sc0 sc1 // load C for beta calc
_buffer_load_b64 v[60:61], v7, s[sgprSrdC:sgprSrdC+3], 0, offen offset:640,  sc0 sc1 // load C for beta calc
_buffer_load_b64 v[64:65], v7, s[sgprSrdC:sgprSrdC+3], 0, offen offset:768,  sc0 sc1 // load C for beta calc
_buffer_load_b64 v[68:69], v7, s[sgprSrdC:sgprSrdC+3], 0, offen offset:896,  sc0 sc1 // load C for beta calc
s_mul_i32 s32, s[sgprStrideC1J], 32                // scale StrideC *= numRows(4) * bpe
s_add_u32  s[sgprSrdC+0], s[sgprSrdC+0], s32       // incToNextRow: gra SRD += inc(lower)
s_addc_u32  s[sgprSrdC+1], s[sgprSrdC+1], 0        // incToNextRow: gra SRD += inc(upper)
	;; [unrolled: 11-line block ×3, first 2 shown]
_buffer_load_b64 v[104:105], v7, s[sgprSrdC:sgprSrdC+3], 0, offen offset:0,  sc0 sc1 // load C for beta calc
_buffer_load_b64 v[108:109], v7, s[sgprSrdC:sgprSrdC+3], 0, offen offset:128,  sc0 sc1 // load C for beta calc
	;; [unrolled: 1-line block ×8, first 2 shown]
s_mul_i32 s32, s[sgprStrideC1J], 416               // scale StrideC *= numRows(52) * bpe
s_add_u32  s[sgprSrdC+0], s[sgprSrdC+0], s32       // incToNextRow: gra SRD += inc(lower)
s_addc_u32  s[sgprSrdC+1], s[sgprSrdC+1], 0        // incToNextRow: gra SRD += inc(upper)
_buffer_load_b64 v[140:141], v7, s[sgprSrdC:sgprSrdC+3], 0, offen offset:0,  sc0 sc1 // load C for beta calc
_buffer_load_b64 v[144:145], v7, s[sgprSrdC:sgprSrdC+3], 0, offen offset:128,  sc0 sc1 // load C for beta calc
_buffer_load_b64 v[148:149], v7, s[sgprSrdC:sgprSrdC+3], 0, offen offset:256,  sc0 sc1 // load C for beta calc
_buffer_load_b64 v[152:153], v7, s[sgprSrdC:sgprSrdC+3], 0, offen offset:384,  sc0 sc1 // load C for beta calc
_buffer_load_b64 v[156:157], v7, s[sgprSrdC:sgprSrdC+3], 0, offen offset:512,  sc0 sc1 // load C for beta calc
_buffer_load_b64 v[160:161], v7, s[sgprSrdC:sgprSrdC+3], 0, offen offset:640,  sc0 sc1 // load C for beta calc
_buffer_load_b64 v[164:165], v7, s[sgprSrdC:sgprSrdC+3], 0, offen offset:768,  sc0 sc1 // load C for beta calc
_buffer_load_b64 v[168:169], v7, s[sgprSrdC:sgprSrdC+3], 0, offen offset:896,  sc0 sc1 // load C for beta calc
s_mul_i32 s32, s[sgprStrideC1J], 32                // scale StrideC *= numRows(4) * bpe
s_add_u32  s[sgprSrdC+0], s[sgprSrdC+0], s32       // incToNextRow: gra SRD += inc(lower)
s_addc_u32  s[sgprSrdC+1], s[sgprSrdC+1], 0        // incToNextRow: gra SRD += inc(upper)
_buffer_load_b64 v[172:173], v7, s[sgprSrdC:sgprSrdC+3], 0, offen offset:0,  sc0 sc1 // load C for beta calc
_buffer_load_b64 v[176:177], v7, s[sgprSrdC:sgprSrdC+3], 0, offen offset:128,  sc0 sc1 // load C for beta calc
_buffer_load_b64 v[180:181], v7, s[sgprSrdC:sgprSrdC+3], 0, offen offset:256,  sc0 sc1 // load C for beta calc
_buffer_load_b64 v[184:185], v7, s[sgprSrdC:sgprSrdC+3], 0, offen offset:384,  sc0 sc1 // load C for beta calc
_buffer_load_b64 v[188:189], v7, s[sgprSrdC:sgprSrdC+3], 0, offen offset:512,  sc0 sc1 // load C for beta calc
_buffer_load_b64 v[192:193], v7, s[sgprSrdC:sgprSrdC+3], 0, offen offset:640,  sc0 sc1 // load C for beta calc
_buffer_load_b64 v[196:197], v7, s[sgprSrdC:sgprSrdC+3], 0, offen offset:768,  sc0 sc1 // load C for beta calc
_buffer_load_b64 v[200:201], v7, s[sgprSrdC:sgprSrdC+3], 0, offen offset:896,  sc0 sc1 // load C for beta calc
s_mul_i32 s32, s[sgprStrideC1J], 32                // scale StrideC *= numRows(4) * bpe
	;; [unrolled: 11-line block ×3, first 2 shown]
s_add_u32  s[sgprSrdC+0], s[sgprSrdC+0], s32       // incToNextRow: gra SRD += inc(lower)
s_addc_u32  s[sgprSrdC+1], s[sgprSrdC+1], 0        // incToNextRow: gra SRD += inc(upper)
_buffer_load_b64 v[236:237], v7, s[sgprSrdC:sgprSrdC+3], 0, offen offset:0,  sc0 sc1 // load C for beta calc
_buffer_load_b64 v[240:241], v7, s[sgprSrdC:sgprSrdC+3], 0, offen offset:128,  sc0 sc1 // load C for beta calc
	;; [unrolled: 1-line block ×4, first 2 shown]
s_sleep 7 // optimization: sync and wait
s_barrier
v_accvgpr_read_b32 v[vgprValuC+10], acc0 // copy acc to vreg[0]
v_accvgpr_read_b32 v[vgprValuC+11], acc1 // copy acc to vreg[1]
v_accvgpr_read_b32 v[vgprValuC+14], acc8 // copy acc to vreg[2]
v_accvgpr_read_b32 v[vgprValuC+15], acc9 // copy acc to vreg[3]
v_accvgpr_read_b32 v[vgprValuC+18], acc16 // copy acc to vreg[4]
v_accvgpr_read_b32 v[vgprValuC+19], acc17 // copy acc to vreg[5]
v_accvgpr_read_b32 v[vgprValuC+22], acc24 // copy acc to vreg[6]
v_accvgpr_read_b32 v[vgprValuC+23], acc25 // copy acc to vreg[7]
v_accvgpr_read_b32 v[vgprValuC+26], acc32 // copy acc to vreg[8]
v_accvgpr_read_b32 v[vgprValuC+27], acc33 // copy acc to vreg[9]
v_accvgpr_read_b32 v[vgprValuC+30], acc40 // copy acc to vreg[10]
v_accvgpr_read_b32 v[vgprValuC+31], acc41 // copy acc to vreg[11]
v_accvgpr_read_b32 v[vgprValuC+34], acc48 // copy acc to vreg[12]
v_accvgpr_read_b32 v[vgprValuC+35], acc49 // copy acc to vreg[13]
v_accvgpr_read_b32 v[vgprValuC+38], acc56 // copy acc to vreg[14]
v_accvgpr_read_b32 v[vgprValuC+39], acc57 // copy acc to vreg[15]
v_accvgpr_read_b32 v[vgprValuC+42], acc2 // copy acc to vreg[16]
v_accvgpr_read_b32 v[vgprValuC+43], acc3 // copy acc to vreg[17]
v_accvgpr_read_b32 v[vgprValuC+46], acc10 // copy acc to vreg[18]
v_accvgpr_read_b32 v[vgprValuC+47], acc11 // copy acc to vreg[19]
v_accvgpr_read_b32 v[vgprValuC+50], acc18 // copy acc to vreg[20]
v_accvgpr_read_b32 v[vgprValuC+51], acc19 // copy acc to vreg[21]
v_accvgpr_read_b32 v[vgprValuC+54], acc26 // copy acc to vreg[22]
v_accvgpr_read_b32 v[vgprValuC+55], acc27 // copy acc to vreg[23]
v_accvgpr_read_b32 v[vgprValuC+58], acc34 // copy acc to vreg[24]
v_accvgpr_read_b32 v[vgprValuC+59], acc35 // copy acc to vreg[25]
v_accvgpr_read_b32 v[vgprValuC+62], acc42 // copy acc to vreg[26]
v_accvgpr_read_b32 v[vgprValuC+63], acc43 // copy acc to vreg[27]
v_accvgpr_read_b32 v[vgprValuC+66], acc50 // copy acc to vreg[28]
v_accvgpr_read_b32 v[vgprValuC+67], acc51 // copy acc to vreg[29]
v_accvgpr_read_b32 v[vgprValuC+70], acc58 // copy acc to vreg[30]
v_accvgpr_read_b32 v[vgprValuC+71], acc59 // copy acc to vreg[31]
v_accvgpr_read_b32 v[vgprValuC+74], acc4 // copy acc to vreg[32]
v_accvgpr_read_b32 v[vgprValuC+75], acc5 // copy acc to vreg[33]
v_accvgpr_read_b32 v[vgprValuC+78], acc12 // copy acc to vreg[34]
v_accvgpr_read_b32 v[vgprValuC+79], acc13 // copy acc to vreg[35]
v_accvgpr_read_b32 v[vgprValuC+82], acc20 // copy acc to vreg[36]
v_accvgpr_read_b32 v[vgprValuC+83], acc21 // copy acc to vreg[37]
v_accvgpr_read_b32 v[vgprValuC+86], acc28 // copy acc to vreg[38]
v_accvgpr_read_b32 v[vgprValuC+87], acc29 // copy acc to vreg[39]
v_accvgpr_read_b32 v[vgprValuC+90], acc36 // copy acc to vreg[40]
v_accvgpr_read_b32 v[vgprValuC+91], acc37 // copy acc to vreg[41]
v_accvgpr_read_b32 v[vgprValuC+94], acc44 // copy acc to vreg[42]
v_accvgpr_read_b32 v[vgprValuC+95], acc45 // copy acc to vreg[43]
v_accvgpr_read_b32 v[vgprValuC+98], acc52 // copy acc to vreg[44]
v_accvgpr_read_b32 v[vgprValuC+99], acc53 // copy acc to vreg[45]
v_accvgpr_read_b32 v[vgprValuC+102], acc60 // copy acc to vreg[46]
v_accvgpr_read_b32 v[vgprValuC+103], acc61 // copy acc to vreg[47]
v_accvgpr_read_b32 v[vgprValuC+106], acc6 // copy acc to vreg[48]
v_accvgpr_read_b32 v[vgprValuC+107], acc7 // copy acc to vreg[49]
v_accvgpr_read_b32 v[vgprValuC+110], acc14 // copy acc to vreg[50]
v_accvgpr_read_b32 v[vgprValuC+111], acc15 // copy acc to vreg[51]
v_accvgpr_read_b32 v[vgprValuC+114], acc22 // copy acc to vreg[52]
v_accvgpr_read_b32 v[vgprValuC+115], acc23 // copy acc to vreg[53]
v_accvgpr_read_b32 v[vgprValuC+118], acc30 // copy acc to vreg[54]
v_accvgpr_read_b32 v[vgprValuC+119], acc31 // copy acc to vreg[55]
v_accvgpr_read_b32 v[vgprValuC+126], acc38 // copy acc to vreg[56]
v_accvgpr_read_b32 v[vgprValuC+127], acc39 // copy acc to vreg[57]
v_accvgpr_read_b32 v[vgprValuC+130], acc46 // copy acc to vreg[58]
v_accvgpr_read_b32 v[vgprValuC+131], acc47 // copy acc to vreg[59]
v_accvgpr_read_b32 v[vgprValuC+134], acc54 // copy acc to vreg[60]
v_accvgpr_read_b32 v[vgprValuC+135], acc55 // copy acc to vreg[61]
v_accvgpr_read_b32 v[vgprValuC+138], acc62 // copy acc to vreg[62]
v_accvgpr_read_b32 v[vgprValuC+139], acc63 // copy acc to vreg[63]
v_accvgpr_read_b32 v[vgprValuC+142], acc64 // copy acc to vreg[64]
v_accvgpr_read_b32 v[vgprValuC+143], acc65 // copy acc to vreg[65]
v_accvgpr_read_b32 v[vgprValuC+146], acc72 // copy acc to vreg[66]
v_accvgpr_read_b32 v[vgprValuC+147], acc73 // copy acc to vreg[67]
v_accvgpr_read_b32 v[vgprValuC+150], acc80 // copy acc to vreg[68]
v_accvgpr_read_b32 v[vgprValuC+151], acc81 // copy acc to vreg[69]
v_accvgpr_read_b32 v[vgprValuC+154], acc88 // copy acc to vreg[70]
v_accvgpr_read_b32 v[vgprValuC+155], acc89 // copy acc to vreg[71]
v_accvgpr_read_b32 v[vgprValuC+158], acc96 // copy acc to vreg[72]
v_accvgpr_read_b32 v[vgprValuC+159], acc97 // copy acc to vreg[73]
v_accvgpr_read_b32 v[vgprValuC+162], acc104 // copy acc to vreg[74]
v_accvgpr_read_b32 v[vgprValuC+163], acc105 // copy acc to vreg[75]
v_accvgpr_read_b32 v[vgprValuC+166], acc112 // copy acc to vreg[76]
v_accvgpr_read_b32 v[vgprValuC+167], acc113 // copy acc to vreg[77]
v_accvgpr_read_b32 v[vgprValuC+170], acc120 // copy acc to vreg[78]
v_accvgpr_read_b32 v[vgprValuC+171], acc121 // copy acc to vreg[79]
v_accvgpr_read_b32 v[vgprValuC+174], acc66 // copy acc to vreg[80]
v_accvgpr_read_b32 v[vgprValuC+175], acc67 // copy acc to vreg[81]
v_accvgpr_read_b32 v[vgprValuC+178], acc74 // copy acc to vreg[82]
v_accvgpr_read_b32 v[vgprValuC+179], acc75 // copy acc to vreg[83]
v_accvgpr_read_b32 v[vgprValuC+182], acc82 // copy acc to vreg[84]
v_accvgpr_read_b32 v[vgprValuC+183], acc83 // copy acc to vreg[85]
v_accvgpr_read_b32 v[vgprValuC+186], acc90 // copy acc to vreg[86]
v_accvgpr_read_b32 v[vgprValuC+187], acc91 // copy acc to vreg[87]
v_accvgpr_read_b32 v[vgprValuC+190], acc98 // copy acc to vreg[88]
v_accvgpr_read_b32 v[vgprValuC+191], acc99 // copy acc to vreg[89]
v_accvgpr_read_b32 v[vgprValuC+194], acc106 // copy acc to vreg[90]
v_accvgpr_read_b32 v[vgprValuC+195], acc107 // copy acc to vreg[91]
v_accvgpr_read_b32 v[vgprValuC+198], acc114 // copy acc to vreg[92]
v_accvgpr_read_b32 v[vgprValuC+199], acc115 // copy acc to vreg[93]
v_accvgpr_read_b32 v[vgprValuC+202], acc122 // copy acc to vreg[94]
v_accvgpr_read_b32 v[vgprValuC+203], acc123 // copy acc to vreg[95]
v_accvgpr_read_b32 v[vgprValuC+206], acc68 // copy acc to vreg[96]
v_accvgpr_read_b32 v[vgprValuC+207], acc69 // copy acc to vreg[97]
v_accvgpr_read_b32 v[vgprValuC+210], acc76 // copy acc to vreg[98]
v_accvgpr_read_b32 v[vgprValuC+211], acc77 // copy acc to vreg[99]
v_accvgpr_read_b32 v[vgprValuC+214], acc84 // copy acc to vreg[100]
v_accvgpr_read_b32 v[vgprValuC+215], acc85 // copy acc to vreg[101]
v_accvgpr_read_b32 v[vgprValuC+218], acc92 // copy acc to vreg[102]
v_accvgpr_read_b32 v[vgprValuC+219], acc93 // copy acc to vreg[103]
v_accvgpr_read_b32 v[vgprValuC+222], acc100 // copy acc to vreg[104]
v_accvgpr_read_b32 v[vgprValuC+223], acc101 // copy acc to vreg[105]
v_accvgpr_read_b32 v[vgprValuC+226], acc108 // copy acc to vreg[106]
v_accvgpr_read_b32 v[vgprValuC+227], acc109 // copy acc to vreg[107]
v_accvgpr_read_b32 v[vgprValuC+230], acc116 // copy acc to vreg[108]
v_accvgpr_read_b32 v[vgprValuC+231], acc117 // copy acc to vreg[109]
v_accvgpr_read_b32 v[vgprValuC+234], acc124 // copy acc to vreg[110]
v_accvgpr_read_b32 v[vgprValuC+235], acc125 // copy acc to vreg[111]
v_accvgpr_read_b32 v[vgprValuC+238], acc70 // copy acc to vreg[112]
v_accvgpr_read_b32 v[vgprValuC+239], acc71 // copy acc to vreg[113]
v_accvgpr_read_b32 v[vgprValuC+242], acc78 // copy acc to vreg[114]
v_accvgpr_read_b32 v[vgprValuC+243], acc79 // copy acc to vreg[115]
v_accvgpr_read_b32 v[vgprValuC+246], acc86 // copy acc to vreg[116]
v_accvgpr_read_b32 v[vgprValuC+247], acc87 // copy acc to vreg[117]
v_accvgpr_read_b32 v[vgprValuC+250], acc94 // copy acc to vreg[118]
v_accvgpr_read_b32 v[vgprValuC+251], acc95 // copy acc to vreg[119]
s_nop 1                                            // 2 wait states required before reading vgpr

/* rC *= alpha batchElements=[(0, 0, 0, 0), (0, 1, 0, 0), (0, 2, 0, 0), (0, 3, 0, 0), (0, 4, 0, 0), (0, 5, 0, 0), (0, 6, 0, 0), (0, 7, 0, 0), (1, 0, 0, 0), (1, 1, 0, 0), (1, 2, 0, 0), (1, 3, 0, 0), (1, 4, 0, 0), (1, 5, 0, 0), (1, 6, 0, 0), (1, 7, 0, 0), (2, 0, 0, 0), (2, 1, 0, 0), (2, 2, 0, 0), (2, 3, 0, 0), (2, 4, 0, 0), (2, 5, 0, 0), (2, 6, 0, 0), (2, 7, 0, 0), (3, 0, 0, 0), (3, 1, 0, 0), (3, 2, 0, 0), (3, 3, 0, 0), (3, 4, 0, 0), (3, 5, 0, 0), (3, 6, 0, 0), (3, 7, 0, 0), (4, 0, 0, 0), (4, 1, 0, 0), (4, 2, 0, 0), (4, 3, 0, 0), (4, 4, 0, 0), (4, 5, 0, 0), (4, 6, 0, 0), (4, 7, 0, 0), (5, 0, 0, 0), (5, 1, 0, 0), (5, 2, 0, 0), (5, 3, 0, 0), (5, 4, 0, 0), (5, 5, 0, 0), (5, 6, 0, 0), (5, 7, 0, 0), (6, 0, 0, 0), (6, 1, 0, 0), (6, 2, 0, 0), (6, 3, 0, 0), (6, 4, 0, 0), (6, 5, 0, 0), (6, 6, 0, 0), (6, 7, 0, 0), (7, 0, 0, 0), (7, 1, 0, 0), (7, 2, 0, 0), (7, 3, 0, 0)] */
v_mul_f64 v[vgprValuC+10:vgprValuC+10+1], s[sgprAlpha:sgprAlpha+1], v[vgprValuC+10:vgprValuC+10+1] // *= alpha
v_mul_f64 v[vgprValuC+14:vgprValuC+14+1], s[sgprAlpha:sgprAlpha+1], v[vgprValuC+14:vgprValuC+14+1] // *= alpha
	;; [unrolled: 1-line block ×60, first 2 shown]
s_waitcnt vmcnt(0)                                 // wait C

/* apply mask, calc new C and issue writes */
v_fma_f64 v[vgprValuC+10:vgprValuC+10+1], v[8:9], s[sgprBeta:sgprBeta+1], v[vgprValuC+10:vgprValuC+10+1] // finalSum = sum*alpha + C*beta
v_fma_f64 v[vgprValuC+14:vgprValuC+14+1], v[12:13], s[sgprBeta:sgprBeta+1], v[vgprValuC+14:vgprValuC+14+1] // finalSum = sum*alpha + C*beta
	;; [unrolled: 1-line block ×60, first 2 shown]
_buffer_store_b64 v[10:11], v6, s[sgprSrdD:sgprSrdD+3], 0, offen, offset:0,  sc0 sc1 // store D
_buffer_store_b64 v[14:15], v6, s[sgprSrdD:sgprSrdD+3], 0, offen, offset:128,  sc0 sc1 // store D
_buffer_store_b64 v[18:19], v6, s[sgprSrdD:sgprSrdD+3], 0, offen, offset:256,  sc0 sc1 // store D
_buffer_store_b64 v[22:23], v6, s[sgprSrdD:sgprSrdD+3], 0, offen, offset:384,  sc0 sc1 // store D
_buffer_store_b64 v[26:27], v6, s[sgprSrdD:sgprSrdD+3], 0, offen, offset:512,  sc0 sc1 // store D
_buffer_store_b64 v[30:31], v6, s[sgprSrdD:sgprSrdD+3], 0, offen, offset:640,  sc0 sc1 // store D
_buffer_store_b64 v[34:35], v6, s[sgprSrdD:sgprSrdD+3], 0, offen, offset:768,  sc0 sc1 // store D
_buffer_store_b64 v[38:39], v6, s[sgprSrdD:sgprSrdD+3], 0, offen, offset:896,  sc0 sc1 // store D
s_mul_i32 s32, s[sgprStrideD1J], 32                // scale StrideD *= numRows(4) * bpe
s_add_u32  s[sgprSrdD+0], s[sgprSrdD+0], s32       // incToNextRow: gra SRD += inc(lower)
s_addc_u32  s[sgprSrdD+1], s[sgprSrdD+1], 0        // incToNextRow: gra SRD += inc(upper)
_buffer_store_b64 v[42:43], v6, s[sgprSrdD:sgprSrdD+3], 0, offen, offset:0,  sc0 sc1 // store D
_buffer_store_b64 v[46:47], v6, s[sgprSrdD:sgprSrdD+3], 0, offen, offset:128,  sc0 sc1 // store D
_buffer_store_b64 v[50:51], v6, s[sgprSrdD:sgprSrdD+3], 0, offen, offset:256,  sc0 sc1 // store D
_buffer_store_b64 v[54:55], v6, s[sgprSrdD:sgprSrdD+3], 0, offen, offset:384,  sc0 sc1 // store D
_buffer_store_b64 v[58:59], v6, s[sgprSrdD:sgprSrdD+3], 0, offen, offset:512,  sc0 sc1 // store D
_buffer_store_b64 v[62:63], v6, s[sgprSrdD:sgprSrdD+3], 0, offen, offset:640,  sc0 sc1 // store D
_buffer_store_b64 v[66:67], v6, s[sgprSrdD:sgprSrdD+3], 0, offen, offset:768,  sc0 sc1 // store D
_buffer_store_b64 v[70:71], v6, s[sgprSrdD:sgprSrdD+3], 0, offen, offset:896,  sc0 sc1 // store D
s_mul_i32 s32, s[sgprStrideD1J], 32                // scale StrideD *= numRows(4) * bpe
s_add_u32  s[sgprSrdD+0], s[sgprSrdD+0], s32       // incToNextRow: gra SRD += inc(lower)
s_addc_u32  s[sgprSrdD+1], s[sgprSrdD+1], 0        // incToNextRow: gra SRD += inc(upper)
	;; [unrolled: 11-line block ×3, first 2 shown]
_buffer_store_b64 v[106:107], v6, s[sgprSrdD:sgprSrdD+3], 0, offen, offset:0,  sc0 sc1 // store D
_buffer_store_b64 v[110:111], v6, s[sgprSrdD:sgprSrdD+3], 0, offen, offset:128,  sc0 sc1 // store D
	;; [unrolled: 1-line block ×8, first 2 shown]
s_mul_i32 s32, s[sgprStrideD1J], 416               // scale StrideD *= numRows(52) * bpe
s_add_u32  s[sgprSrdD+0], s[sgprSrdD+0], s32       // incToNextRow: gra SRD += inc(lower)
s_addc_u32  s[sgprSrdD+1], s[sgprSrdD+1], 0        // incToNextRow: gra SRD += inc(upper)
_buffer_store_b64 v[142:143], v6, s[sgprSrdD:sgprSrdD+3], 0, offen, offset:0,  sc0 sc1 // store D
_buffer_store_b64 v[146:147], v6, s[sgprSrdD:sgprSrdD+3], 0, offen, offset:128,  sc0 sc1 // store D
_buffer_store_b64 v[150:151], v6, s[sgprSrdD:sgprSrdD+3], 0, offen, offset:256,  sc0 sc1 // store D
_buffer_store_b64 v[154:155], v6, s[sgprSrdD:sgprSrdD+3], 0, offen, offset:384,  sc0 sc1 // store D
_buffer_store_b64 v[158:159], v6, s[sgprSrdD:sgprSrdD+3], 0, offen, offset:512,  sc0 sc1 // store D
_buffer_store_b64 v[162:163], v6, s[sgprSrdD:sgprSrdD+3], 0, offen, offset:640,  sc0 sc1 // store D
_buffer_store_b64 v[166:167], v6, s[sgprSrdD:sgprSrdD+3], 0, offen, offset:768,  sc0 sc1 // store D
_buffer_store_b64 v[170:171], v6, s[sgprSrdD:sgprSrdD+3], 0, offen, offset:896,  sc0 sc1 // store D
s_mul_i32 s32, s[sgprStrideD1J], 32                // scale StrideD *= numRows(4) * bpe
s_add_u32  s[sgprSrdD+0], s[sgprSrdD+0], s32       // incToNextRow: gra SRD += inc(lower)
s_addc_u32  s[sgprSrdD+1], s[sgprSrdD+1], 0        // incToNextRow: gra SRD += inc(upper)
_buffer_store_b64 v[174:175], v6, s[sgprSrdD:sgprSrdD+3], 0, offen, offset:0,  sc0 sc1 // store D
_buffer_store_b64 v[178:179], v6, s[sgprSrdD:sgprSrdD+3], 0, offen, offset:128,  sc0 sc1 // store D
_buffer_store_b64 v[182:183], v6, s[sgprSrdD:sgprSrdD+3], 0, offen, offset:256,  sc0 sc1 // store D
_buffer_store_b64 v[186:187], v6, s[sgprSrdD:sgprSrdD+3], 0, offen, offset:384,  sc0 sc1 // store D
_buffer_store_b64 v[190:191], v6, s[sgprSrdD:sgprSrdD+3], 0, offen, offset:512,  sc0 sc1 // store D
_buffer_store_b64 v[194:195], v6, s[sgprSrdD:sgprSrdD+3], 0, offen, offset:640,  sc0 sc1 // store D
_buffer_store_b64 v[198:199], v6, s[sgprSrdD:sgprSrdD+3], 0, offen, offset:768,  sc0 sc1 // store D
_buffer_store_b64 v[202:203], v6, s[sgprSrdD:sgprSrdD+3], 0, offen, offset:896,  sc0 sc1 // store D
s_mul_i32 s32, s[sgprStrideD1J], 32                // scale StrideD *= numRows(4) * bpe
	;; [unrolled: 11-line block ×3, first 2 shown]
s_add_u32  s[sgprSrdD+0], s[sgprSrdD+0], s32       // incToNextRow: gra SRD += inc(lower)
s_addc_u32  s[sgprSrdD+1], s[sgprSrdD+1], 0        // incToNextRow: gra SRD += inc(upper)
_buffer_store_b64 v[238:239], v6, s[sgprSrdD:sgprSrdD+3], 0, offen, offset:0,  sc0 sc1 // store D
_buffer_store_b64 v[242:243], v6, s[sgprSrdD:sgprSrdD+3], 0, offen, offset:128,  sc0 sc1 // store D
	;; [unrolled: 1-line block ×4, first 2 shown]
s_nop 0                                            // 1 wait state required when next inst writes vgprs held by previous dwordx4 store inst
/* optSingleColVgpr=1 optSharedColVgpr=0 optSGPRUsage=BufferLoad_Mask optSrdIncForRow=1 */
s_sleep 7 // optimization: sync and wait
s_barrier

/******************************************/
/* Global Write Alpha Beta Batch #1 (d1,d0,vc1,vc0) = */
/*    (7,4,0,0:vw1); (7,5,0,0:vw1); (7,6,0,0:vw1); (7,7,0,0:vw1) */
/******************************************/

/* calc coords, apply mask, and issue loads (if necessary) */
/* (d1,vc1,d0,vc0)=(7,0,4,0) */
/* (d1,vc1,d0,vc0)=(7,0,5,0) */
	;; [unrolled: 1-line block ×4, first 2 shown]
_buffer_load_b64 v[8:9], v7, s[sgprSrdC:sgprSrdC+3], 0, offen offset:512,  sc0 sc1 // load C for beta calc
_buffer_load_b64 v[12:13], v7, s[sgprSrdC:sgprSrdC+3], 0, offen offset:640,  sc0 sc1 // load C for beta calc
_buffer_load_b64 v[16:17], v7, s[sgprSrdC:sgprSrdC+3], 0, offen offset:768,  sc0 sc1 // load C for beta calc
_buffer_load_b64 v[20:21], v7, s[sgprSrdC:sgprSrdC+3], 0, offen offset:896,  sc0 sc1 // load C for beta calc
s_sleep 7 // optimization: sync and wait
s_barrier
v_accvgpr_read_b32 v[vgprValuC+10], acc102 // copy acc to vreg[120]
v_accvgpr_read_b32 v[vgprValuC+11], acc103 // copy acc to vreg[121]
v_accvgpr_read_b32 v[vgprValuC+14], acc110 // copy acc to vreg[122]
v_accvgpr_read_b32 v[vgprValuC+15], acc111 // copy acc to vreg[123]
v_accvgpr_read_b32 v[vgprValuC+18], acc118 // copy acc to vreg[124]
v_accvgpr_read_b32 v[vgprValuC+19], acc119 // copy acc to vreg[125]
v_accvgpr_read_b32 v[vgprValuC+22], acc126 // copy acc to vreg[126]
v_accvgpr_read_b32 v[vgprValuC+23], acc127 // copy acc to vreg[127]
s_nop 1                                            // 2 wait states required before reading vgpr

/* rC *= alpha batchElements=[(7, 4, 0, 0), (7, 5, 0, 0), (7, 6, 0, 0), (7, 7, 0, 0)] */
v_mul_f64 v[vgprValuC+10:vgprValuC+10+1], s[sgprAlpha:sgprAlpha+1], v[vgprValuC+10:vgprValuC+10+1] // *= alpha
v_mul_f64 v[vgprValuC+14:vgprValuC+14+1], s[sgprAlpha:sgprAlpha+1], v[vgprValuC+14:vgprValuC+14+1] // *= alpha
	;; [unrolled: 1-line block ×4, first 2 shown]
s_waitcnt vmcnt(0)                                 // wait C

/* apply mask, calc new C and issue writes */
v_fma_f64 v[vgprValuC+10:vgprValuC+10+1], v[8:9], s[sgprBeta:sgprBeta+1], v[vgprValuC+10:vgprValuC+10+1] // finalSum = sum*alpha + C*beta
v_fma_f64 v[vgprValuC+14:vgprValuC+14+1], v[12:13], s[sgprBeta:sgprBeta+1], v[vgprValuC+14:vgprValuC+14+1] // finalSum = sum*alpha + C*beta
v_fma_f64 v[vgprValuC+18:vgprValuC+18+1], v[16:17], s[sgprBeta:sgprBeta+1], v[vgprValuC+18:vgprValuC+18+1] // finalSum = sum*alpha + C*beta
v_fma_f64 v[vgprValuC+22:vgprValuC+22+1], v[20:21], s[sgprBeta:sgprBeta+1], v[vgprValuC+22:vgprValuC+22+1] // finalSum = sum*alpha + C*beta
_buffer_store_b64 v[10:11], v6, s[sgprSrdD:sgprSrdD+3], 0, offen, offset:512,  sc0 sc1 // store D
_buffer_store_b64 v[14:15], v6, s[sgprSrdD:sgprSrdD+3], 0, offen, offset:640,  sc0 sc1 // store D
	;; [unrolled: 1-line block ×4, first 2 shown]
s_nop 0                                            // 1 wait state required when next inst writes vgprs held by previous dwordx4 store inst
s_branch label_GW_End_78                           // jump to end
GW_B1_E1_77:

/* edge=1, allocate 6 sgpr. perBatchTmpS=4 perBatchMaskS=2 perElementMaskS=0 elementsPerBatch=40 */
/* optSingleColVgpr=0 optSharedColVgpr=0 optSGPRUsage=BufferLoad_Edge_Mask optSrdIncForRow=0 */
s_sleep 7 // optimization: sync and wait
s_barrier

/******************************************/
/* Global Write Alpha Beta Edge Batch #0 (d1,d0,vc1,vc0) = */
/*    (0,0,0,0:vw1); (0,1,0,0:vw1); (0,2,0,0:vw1); (0,3,0,0:vw1); (0,4,0,0:vw1); (0,5,0,0:vw1); (0,6,0,0:vw1); (0,7,0,0:vw1); (1,0,0,0:vw1); (1,1,0,0:vw1); (1,2,0,0:vw1); (1,3,0,0:vw1); (1,4,0,0:vw1); (1,5,0,0:vw1); (1,6,0,0:vw1); (1,7,0,0:vw1); (2,0,0,0:vw1); (2,1,0,0:vw1); (2,2,0,0:vw1); (2,3,0,0:vw1); (2,4,0,0:vw1); (2,5,0,0:vw1); (2,6,0,0:vw1); (2,7,0,0:vw1); (3,0,0,0:vw1); (3,1,0,0:vw1); (3,2,0,0:vw1); (3,3,0,0:vw1); (3,4,0,0:vw1); (3,5,0,0:vw1); (3,6,0,0:vw1); (3,7,0,0:vw1); (4,0,0,0:vw1); (4,1,0,0:vw1); (4,2,0,0:vw1); (4,3,0,0:vw1); (4,4,0,0:vw1); (4,5,0,0:vw1); (4,6,0,0:vw1); (4,7,0,0:vw1) */
/******************************************/

/* calc coords, apply mask, and issue loads (if necessary) */
/* (d1,vc1,d0,vc0)=(0,0,0,0) */
v_cmp_lt_u32 s[54:55], v0, s[sgprSizeI]            // coord0 < size0
v_cmp_lt_u32 s[58:59], v1, s[sgprSizeJ]            // coord1 < size1
s_and_b64 s[58:59], s[54:55], s[58:59]             // in0 && in1
_v_add_lshl_u32 v7, v2, v0, 0x3                    // scaleToBpe: accumulate d0 lower and *= bpe into Cin addr
v_cndmask_b32 v7, -1, v7, s[58:59]                 // LDC clip if OOB. offset
_v_add_lshl_u32 v6, v3, v0, 0x3                    // scaleToBpe: accumulate d0 lower and *= bpe into Cin addr
v_cndmask_b32 v6, -1, v6, s[58:59]                 // LDD clip if OOB. offset
/* (d1,vc1,d0,vc0)=(0,0,1,0) */
_v_add_co_u32 v4, vcc, v0, 16                      // coord0.1: coord0 += d0*sg0*VW + vc0
v_cmp_lt_u32 s[54:55], v4, s[sgprSizeI]            // coord0 < size0
v_cmp_lt_u32 s[58:59], v1, s[sgprSizeJ]            // coord1 < size1
s_and_b64 s[58:59], s[54:55], s[58:59]             // in0 && in1
_v_add_lshl_u32 v13, v2, v4, 0x3                   // scaleToBpe: accumulate d0 lower and *= bpe into Cin addr
v_cndmask_b32 v13, -1, v13, s[58:59]               // LDC clip if OOB. offset
_v_add_lshl_u32 v12, v3, v4, 0x3                   // scaleToBpe: accumulate d0 lower and *= bpe into Cin addr
v_cndmask_b32 v12, -1, v12, s[58:59]               // LDD clip if OOB. offset
/* (d1,vc1,d0,vc0)=(0,0,2,0) */
_v_add_co_u32 v4, vcc, v0, 32                      // coord0.1: coord0 += d0*sg0*VW + vc0
v_cmp_lt_u32 s[54:55], v4, s[sgprSizeI]            // coord0 < size0
v_cmp_lt_u32 s[58:59], v1, s[sgprSizeJ]            // coord1 < size1
s_and_b64 s[58:59], s[54:55], s[58:59]             // in0 && in1
_v_add_lshl_u32 v19, v2, v4, 0x3                   // scaleToBpe: accumulate d0 lower and *= bpe into Cin addr
v_cndmask_b32 v19, -1, v19, s[58:59]               // LDC clip if OOB. offset
_v_add_lshl_u32 v18, v3, v4, 0x3                   // scaleToBpe: accumulate d0 lower and *= bpe into Cin addr
v_cndmask_b32 v18, -1, v18, s[58:59]               // LDD clip if OOB. offset
	;; [unrolled: 9-line block ×4, first 2 shown]
/* (d1,vc1,d0,vc0)=(0,0,5,0) */
s_mov_b32 s54, 80                                  // coordOffset0 d0=5 vc0=0
_v_add_co_u32 v4, vcc, v0, s54                     // coord0.2: coord0 += d0*sg0*VW + vc0
v_cmp_lt_u32 s[54:55], v4, s[sgprSizeI]            // coord0 < size0
v_cmp_lt_u32 s[58:59], v1, s[sgprSizeJ]            // coord1 < size1
s_and_b64 s[58:59], s[54:55], s[58:59]             // in0 && in1
_v_add_lshl_u32 v37, v2, v4, 0x3                   // scaleToBpe: accumulate d0 lower and *= bpe into Cin addr
v_cndmask_b32 v37, -1, v37, s[58:59]               // LDC clip if OOB. offset
_v_add_lshl_u32 v36, v3, v4, 0x3                   // scaleToBpe: accumulate d0 lower and *= bpe into Cin addr
v_cndmask_b32 v36, -1, v36, s[58:59]               // LDD clip if OOB. offset
/* (d1,vc1,d0,vc0)=(0,0,6,0) */
s_mov_b32 s54, 96                                  // coordOffset0 d0=6 vc0=0
_v_add_co_u32 v4, vcc, v0, s54                     // coord0.2: coord0 += d0*sg0*VW + vc0
v_cmp_lt_u32 s[54:55], v4, s[sgprSizeI]            // coord0 < size0
v_cmp_lt_u32 s[58:59], v1, s[sgprSizeJ]            // coord1 < size1
s_and_b64 s[58:59], s[54:55], s[58:59]             // in0 && in1
_v_add_lshl_u32 v43, v2, v4, 0x3                   // scaleToBpe: accumulate d0 lower and *= bpe into Cin addr
v_cndmask_b32 v43, -1, v43, s[58:59]               // LDC clip if OOB. offset
_v_add_lshl_u32 v42, v3, v4, 0x3                   // scaleToBpe: accumulate d0 lower and *= bpe into Cin addr
v_cndmask_b32 v42, -1, v42, s[58:59]               // LDD clip if OOB. offset
/* (d1,vc1,d0,vc0)=(0,0,7,0) */
s_mov_b32 s54, 112                                 // coordOffset0 d0=7 vc0=0
_v_add_co_u32 v4, vcc, v0, s54                     // coord0.2: coord0 += d0*sg0*VW + vc0
v_cmp_lt_u32 s[54:55], v4, s[sgprSizeI]            // coord0 < size0
v_cmp_lt_u32 s[58:59], v1, s[sgprSizeJ]            // coord1 < size1
s_and_b64 s[58:59], s[54:55], s[58:59]             // in0 && in1
_v_add_lshl_u32 v49, v2, v4, 0x3                   // scaleToBpe: accumulate d0 lower and *= bpe into Cin addr
v_cndmask_b32 v49, -1, v49, s[58:59]               // LDC clip if OOB. offset
_v_add_lshl_u32 v48, v3, v4, 0x3                   // scaleToBpe: accumulate d0 lower and *= bpe into Cin addr
v_cndmask_b32 v48, -1, v48, s[58:59]               // LDD clip if OOB. offset
/* (d1,vc1,d0,vc0)=(1,0,0,0) */
_v_add_co_u32 v1, vcc, v1, 4                       // coord1.1: coord1Vgpr += d1*sg1*VW + vc1

/* Fix for UseInitialStridesCD, emitAddressSetupCode */
s_mul_i32 s54, s[sgprStrideC1J], 4                 // scale stride
_v_add_u32 v2, v2, s54                             // ROWINC- Move cinRowPtr to next row
s_mul_i32 s54, s[sgprStrideD1J], 4                 // scale stride
_v_add_u32 v3, v3, s54                             // Move coutRowPtr to next row
v_cmp_lt_u32 s[54:55], v0, s[sgprSizeI]            // coord0 < size0
v_cmp_lt_u32 s[58:59], v1, s[sgprSizeJ]            // coord1 < size1
s_and_b64 s[58:59], s[54:55], s[58:59]             // in0 && in1
_v_add_lshl_u32 v55, v2, v0, 0x3                   // scaleToBpe: accumulate d0 lower and *= bpe into Cin addr
v_cndmask_b32 v55, -1, v55, s[58:59]               // LDC clip if OOB. offset
_v_add_lshl_u32 v54, v3, v0, 0x3                   // scaleToBpe: accumulate d0 lower and *= bpe into Cin addr
v_cndmask_b32 v54, -1, v54, s[58:59]               // LDD clip if OOB. offset
/* (d1,vc1,d0,vc0)=(1,0,1,0) */
_v_add_co_u32 v4, vcc, v0, 16                      // coord0.1: coord0 += d0*sg0*VW + vc0
v_cmp_lt_u32 s[54:55], v4, s[sgprSizeI]            // coord0 < size0
v_cmp_lt_u32 s[58:59], v1, s[sgprSizeJ]            // coord1 < size1
s_and_b64 s[58:59], s[54:55], s[58:59]             // in0 && in1
_v_add_lshl_u32 v61, v2, v4, 0x3                   // scaleToBpe: accumulate d0 lower and *= bpe into Cin addr
v_cndmask_b32 v61, -1, v61, s[58:59]               // LDC clip if OOB. offset
_v_add_lshl_u32 v60, v3, v4, 0x3                   // scaleToBpe: accumulate d0 lower and *= bpe into Cin addr
v_cndmask_b32 v60, -1, v60, s[58:59]               // LDD clip if OOB. offset
/* (d1,vc1,d0,vc0)=(1,0,2,0) */
_v_add_co_u32 v4, vcc, v0, 32                      // coord0.1: coord0 += d0*sg0*VW + vc0
	;; [unrolled: 9-line block ×4, first 2 shown]
v_cmp_lt_u32 s[54:55], v4, s[sgprSizeI]            // coord0 < size0
v_cmp_lt_u32 s[58:59], v1, s[sgprSizeJ]            // coord1 < size1
s_and_b64 s[58:59], s[54:55], s[58:59]             // in0 && in1
_v_add_lshl_u32 v79, v2, v4, 0x3                   // scaleToBpe: accumulate d0 lower and *= bpe into Cin addr
v_cndmask_b32 v79, -1, v79, s[58:59]               // LDC clip if OOB. offset
_v_add_lshl_u32 v78, v3, v4, 0x3                   // scaleToBpe: accumulate d0 lower and *= bpe into Cin addr
v_cndmask_b32 v78, -1, v78, s[58:59]               // LDD clip if OOB. offset
/* (d1,vc1,d0,vc0)=(1,0,5,0) */
s_mov_b32 s54, 80                                  // coordOffset0 d0=5 vc0=0
_v_add_co_u32 v4, vcc, v0, s54                     // coord0.2: coord0 += d0*sg0*VW + vc0
v_cmp_lt_u32 s[54:55], v4, s[sgprSizeI]            // coord0 < size0
v_cmp_lt_u32 s[58:59], v1, s[sgprSizeJ]            // coord1 < size1
s_and_b64 s[58:59], s[54:55], s[58:59]             // in0 && in1
_v_add_lshl_u32 v85, v2, v4, 0x3                   // scaleToBpe: accumulate d0 lower and *= bpe into Cin addr
v_cndmask_b32 v85, -1, v85, s[58:59]               // LDC clip if OOB. offset
_v_add_lshl_u32 v84, v3, v4, 0x3                   // scaleToBpe: accumulate d0 lower and *= bpe into Cin addr
v_cndmask_b32 v84, -1, v84, s[58:59]               // LDD clip if OOB. offset
/* (d1,vc1,d0,vc0)=(1,0,6,0) */
s_mov_b32 s54, 96                                  // coordOffset0 d0=6 vc0=0
_v_add_co_u32 v4, vcc, v0, s54                     // coord0.2: coord0 += d0*sg0*VW + vc0
v_cmp_lt_u32 s[54:55], v4, s[sgprSizeI]            // coord0 < size0
v_cmp_lt_u32 s[58:59], v1, s[sgprSizeJ]            // coord1 < size1
s_and_b64 s[58:59], s[54:55], s[58:59]             // in0 && in1
_v_add_lshl_u32 v91, v2, v4, 0x3                   // scaleToBpe: accumulate d0 lower and *= bpe into Cin addr
v_cndmask_b32 v91, -1, v91, s[58:59]               // LDC clip if OOB. offset
_v_add_lshl_u32 v90, v3, v4, 0x3                   // scaleToBpe: accumulate d0 lower and *= bpe into Cin addr
v_cndmask_b32 v90, -1, v90, s[58:59]               // LDD clip if OOB. offset
/* (d1,vc1,d0,vc0)=(1,0,7,0) */
s_mov_b32 s54, 112                                 // coordOffset0 d0=7 vc0=0
_v_add_co_u32 v4, vcc, v0, s54                     // coord0.2: coord0 += d0*sg0*VW + vc0
v_cmp_lt_u32 s[54:55], v4, s[sgprSizeI]            // coord0 < size0
v_cmp_lt_u32 s[58:59], v1, s[sgprSizeJ]            // coord1 < size1
s_and_b64 s[58:59], s[54:55], s[58:59]             // in0 && in1
_v_add_lshl_u32 v97, v2, v4, 0x3                   // scaleToBpe: accumulate d0 lower and *= bpe into Cin addr
v_cndmask_b32 v97, -1, v97, s[58:59]               // LDC clip if OOB. offset
_v_add_lshl_u32 v96, v3, v4, 0x3                   // scaleToBpe: accumulate d0 lower and *= bpe into Cin addr
v_cndmask_b32 v96, -1, v96, s[58:59]               // LDD clip if OOB. offset
/* (d1,vc1,d0,vc0)=(2,0,0,0) */
_v_add_co_u32 v1, vcc, v1, 4                       // coord1.1: coord1Vgpr += d1*sg1*VW + vc1

/* Fix for UseInitialStridesCD, emitAddressSetupCode */
s_mul_i32 s54, s[sgprStrideC1J], 4                 // scale stride
_v_add_u32 v2, v2, s54                             // ROWINC- Move cinRowPtr to next row
s_mul_i32 s54, s[sgprStrideD1J], 4                 // scale stride
_v_add_u32 v3, v3, s54                             // Move coutRowPtr to next row
v_cmp_lt_u32 s[54:55], v0, s[sgprSizeI]            // coord0 < size0
v_cmp_lt_u32 s[58:59], v1, s[sgprSizeJ]            // coord1 < size1
s_and_b64 s[58:59], s[54:55], s[58:59]             // in0 && in1
_v_add_lshl_u32 v103, v2, v0, 0x3                  // scaleToBpe: accumulate d0 lower and *= bpe into Cin addr
v_cndmask_b32 v103, -1, v103, s[58:59]             // LDC clip if OOB. offset
_v_add_lshl_u32 v102, v3, v0, 0x3                  // scaleToBpe: accumulate d0 lower and *= bpe into Cin addr
v_cndmask_b32 v102, -1, v102, s[58:59]             // LDD clip if OOB. offset
/* (d1,vc1,d0,vc0)=(2,0,1,0) */
_v_add_co_u32 v4, vcc, v0, 16                      // coord0.1: coord0 += d0*sg0*VW + vc0
v_cmp_lt_u32 s[54:55], v4, s[sgprSizeI]            // coord0 < size0
v_cmp_lt_u32 s[58:59], v1, s[sgprSizeJ]            // coord1 < size1
s_and_b64 s[58:59], s[54:55], s[58:59]             // in0 && in1
_v_add_lshl_u32 v109, v2, v4, 0x3                  // scaleToBpe: accumulate d0 lower and *= bpe into Cin addr
v_cndmask_b32 v109, -1, v109, s[58:59]             // LDC clip if OOB. offset
_v_add_lshl_u32 v108, v3, v4, 0x3                  // scaleToBpe: accumulate d0 lower and *= bpe into Cin addr
v_cndmask_b32 v108, -1, v108, s[58:59]             // LDD clip if OOB. offset
/* (d1,vc1,d0,vc0)=(2,0,2,0) */
_v_add_co_u32 v4, vcc, v0, 32                      // coord0.1: coord0 += d0*sg0*VW + vc0
	;; [unrolled: 9-line block ×4, first 2 shown]
v_cmp_lt_u32 s[54:55], v4, s[sgprSizeI]            // coord0 < size0
v_cmp_lt_u32 s[58:59], v1, s[sgprSizeJ]            // coord1 < size1
s_and_b64 s[58:59], s[54:55], s[58:59]             // in0 && in1
_v_add_lshl_u32 v130, v2, v4, 0x3                  // scaleToBpe: accumulate d0 lower and *= bpe into Cin addr
v_cndmask_b32 v130, -1, v130, s[58:59]             // LDC clip if OOB. offset
_v_add_lshl_u32 v125, v3, v4, 0x3                  // scaleToBpe: accumulate d0 lower and *= bpe into Cin addr
v_cndmask_b32 v125, -1, v125, s[58:59]             // LDD clip if OOB. offset
/* (d1,vc1,d0,vc0)=(2,0,5,0) */
s_mov_b32 s54, 80                                  // coordOffset0 d0=5 vc0=0
_v_add_co_u32 v4, vcc, v0, s54                     // coord0.2: coord0 += d0*sg0*VW + vc0
v_cmp_lt_u32 s[54:55], v4, s[sgprSizeI]            // coord0 < size0
v_cmp_lt_u32 s[58:59], v1, s[sgprSizeJ]            // coord1 < size1
s_and_b64 s[58:59], s[54:55], s[58:59]             // in0 && in1
_v_add_lshl_u32 v136, v2, v4, 0x3                  // scaleToBpe: accumulate d0 lower and *= bpe into Cin addr
v_cndmask_b32 v136, -1, v136, s[58:59]             // LDC clip if OOB. offset
_v_add_lshl_u32 v131, v3, v4, 0x3                  // scaleToBpe: accumulate d0 lower and *= bpe into Cin addr
v_cndmask_b32 v131, -1, v131, s[58:59]             // LDD clip if OOB. offset
/* (d1,vc1,d0,vc0)=(2,0,6,0) */
s_mov_b32 s54, 96                                  // coordOffset0 d0=6 vc0=0
_v_add_co_u32 v4, vcc, v0, s54                     // coord0.2: coord0 += d0*sg0*VW + vc0
v_cmp_lt_u32 s[54:55], v4, s[sgprSizeI]            // coord0 < size0
v_cmp_lt_u32 s[58:59], v1, s[sgprSizeJ]            // coord1 < size1
s_and_b64 s[58:59], s[54:55], s[58:59]             // in0 && in1
_v_add_lshl_u32 v142, v2, v4, 0x3                  // scaleToBpe: accumulate d0 lower and *= bpe into Cin addr
v_cndmask_b32 v142, -1, v142, s[58:59]             // LDC clip if OOB. offset
_v_add_lshl_u32 v137, v3, v4, 0x3                  // scaleToBpe: accumulate d0 lower and *= bpe into Cin addr
v_cndmask_b32 v137, -1, v137, s[58:59]             // LDD clip if OOB. offset
/* (d1,vc1,d0,vc0)=(2,0,7,0) */
s_mov_b32 s54, 112                                 // coordOffset0 d0=7 vc0=0
_v_add_co_u32 v4, vcc, v0, s54                     // coord0.2: coord0 += d0*sg0*VW + vc0
v_cmp_lt_u32 s[54:55], v4, s[sgprSizeI]            // coord0 < size0
v_cmp_lt_u32 s[58:59], v1, s[sgprSizeJ]            // coord1 < size1
s_and_b64 s[58:59], s[54:55], s[58:59]             // in0 && in1
_v_add_lshl_u32 v148, v2, v4, 0x3                  // scaleToBpe: accumulate d0 lower and *= bpe into Cin addr
v_cndmask_b32 v148, -1, v148, s[58:59]             // LDC clip if OOB. offset
_v_add_lshl_u32 v143, v3, v4, 0x3                  // scaleToBpe: accumulate d0 lower and *= bpe into Cin addr
v_cndmask_b32 v143, -1, v143, s[58:59]             // LDD clip if OOB. offset
/* (d1,vc1,d0,vc0)=(3,0,0,0) */
_v_add_co_u32 v1, vcc, v1, 4                       // coord1.1: coord1Vgpr += d1*sg1*VW + vc1

/* Fix for UseInitialStridesCD, emitAddressSetupCode */
s_mul_i32 s54, s[sgprStrideC1J], 4                 // scale stride
_v_add_u32 v2, v2, s54                             // ROWINC- Move cinRowPtr to next row
s_mul_i32 s54, s[sgprStrideD1J], 4                 // scale stride
_v_add_u32 v3, v3, s54                             // Move coutRowPtr to next row
v_cmp_lt_u32 s[54:55], v0, s[sgprSizeI]            // coord0 < size0
v_cmp_lt_u32 s[58:59], v1, s[sgprSizeJ]            // coord1 < size1
s_and_b64 s[58:59], s[54:55], s[58:59]             // in0 && in1
_v_add_lshl_u32 v154, v2, v0, 0x3                  // scaleToBpe: accumulate d0 lower and *= bpe into Cin addr
v_cndmask_b32 v154, -1, v154, s[58:59]             // LDC clip if OOB. offset
_v_add_lshl_u32 v149, v3, v0, 0x3                  // scaleToBpe: accumulate d0 lower and *= bpe into Cin addr
v_cndmask_b32 v149, -1, v149, s[58:59]             // LDD clip if OOB. offset
/* (d1,vc1,d0,vc0)=(3,0,1,0) */
_v_add_co_u32 v4, vcc, v0, 16                      // coord0.1: coord0 += d0*sg0*VW + vc0
v_cmp_lt_u32 s[54:55], v4, s[sgprSizeI]            // coord0 < size0
v_cmp_lt_u32 s[58:59], v1, s[sgprSizeJ]            // coord1 < size1
s_and_b64 s[58:59], s[54:55], s[58:59]             // in0 && in1
_v_add_lshl_u32 v160, v2, v4, 0x3                  // scaleToBpe: accumulate d0 lower and *= bpe into Cin addr
v_cndmask_b32 v160, -1, v160, s[58:59]             // LDC clip if OOB. offset
_v_add_lshl_u32 v155, v3, v4, 0x3                  // scaleToBpe: accumulate d0 lower and *= bpe into Cin addr
v_cndmask_b32 v155, -1, v155, s[58:59]             // LDD clip if OOB. offset
/* (d1,vc1,d0,vc0)=(3,0,2,0) */
_v_add_co_u32 v4, vcc, v0, 32                      // coord0.1: coord0 += d0*sg0*VW + vc0
	;; [unrolled: 9-line block ×4, first 2 shown]
v_cmp_lt_u32 s[54:55], v4, s[sgprSizeI]            // coord0 < size0
v_cmp_lt_u32 s[58:59], v1, s[sgprSizeJ]            // coord1 < size1
s_and_b64 s[58:59], s[54:55], s[58:59]             // in0 && in1
_v_add_lshl_u32 v178, v2, v4, 0x3                  // scaleToBpe: accumulate d0 lower and *= bpe into Cin addr
v_cndmask_b32 v178, -1, v178, s[58:59]             // LDC clip if OOB. offset
_v_add_lshl_u32 v173, v3, v4, 0x3                  // scaleToBpe: accumulate d0 lower and *= bpe into Cin addr
v_cndmask_b32 v173, -1, v173, s[58:59]             // LDD clip if OOB. offset
/* (d1,vc1,d0,vc0)=(3,0,5,0) */
s_mov_b32 s54, 80                                  // coordOffset0 d0=5 vc0=0
_v_add_co_u32 v4, vcc, v0, s54                     // coord0.2: coord0 += d0*sg0*VW + vc0
v_cmp_lt_u32 s[54:55], v4, s[sgprSizeI]            // coord0 < size0
v_cmp_lt_u32 s[58:59], v1, s[sgprSizeJ]            // coord1 < size1
s_and_b64 s[58:59], s[54:55], s[58:59]             // in0 && in1
_v_add_lshl_u32 v184, v2, v4, 0x3                  // scaleToBpe: accumulate d0 lower and *= bpe into Cin addr
v_cndmask_b32 v184, -1, v184, s[58:59]             // LDC clip if OOB. offset
_v_add_lshl_u32 v179, v3, v4, 0x3                  // scaleToBpe: accumulate d0 lower and *= bpe into Cin addr
v_cndmask_b32 v179, -1, v179, s[58:59]             // LDD clip if OOB. offset
/* (d1,vc1,d0,vc0)=(3,0,6,0) */
s_mov_b32 s54, 96                                  // coordOffset0 d0=6 vc0=0
_v_add_co_u32 v4, vcc, v0, s54                     // coord0.2: coord0 += d0*sg0*VW + vc0
v_cmp_lt_u32 s[54:55], v4, s[sgprSizeI]            // coord0 < size0
v_cmp_lt_u32 s[58:59], v1, s[sgprSizeJ]            // coord1 < size1
s_and_b64 s[58:59], s[54:55], s[58:59]             // in0 && in1
_v_add_lshl_u32 v190, v2, v4, 0x3                  // scaleToBpe: accumulate d0 lower and *= bpe into Cin addr
v_cndmask_b32 v190, -1, v190, s[58:59]             // LDC clip if OOB. offset
_v_add_lshl_u32 v185, v3, v4, 0x3                  // scaleToBpe: accumulate d0 lower and *= bpe into Cin addr
v_cndmask_b32 v185, -1, v185, s[58:59]             // LDD clip if OOB. offset
/* (d1,vc1,d0,vc0)=(3,0,7,0) */
s_mov_b32 s54, 112                                 // coordOffset0 d0=7 vc0=0
_v_add_co_u32 v4, vcc, v0, s54                     // coord0.2: coord0 += d0*sg0*VW + vc0
v_cmp_lt_u32 s[54:55], v4, s[sgprSizeI]            // coord0 < size0
v_cmp_lt_u32 s[58:59], v1, s[sgprSizeJ]            // coord1 < size1
s_and_b64 s[58:59], s[54:55], s[58:59]             // in0 && in1
_v_add_lshl_u32 v196, v2, v4, 0x3                  // scaleToBpe: accumulate d0 lower and *= bpe into Cin addr
v_cndmask_b32 v196, -1, v196, s[58:59]             // LDC clip if OOB. offset
_v_add_lshl_u32 v191, v3, v4, 0x3                  // scaleToBpe: accumulate d0 lower and *= bpe into Cin addr
v_cndmask_b32 v191, -1, v191, s[58:59]             // LDD clip if OOB. offset
/* (d1,vc1,d0,vc0)=(4,0,0,0) */
_v_add_co_u32 v1, vcc, v1, 52                      // coord1.1: coord1Vgpr += d1*sg1*VW + vc1

/* Fix for UseInitialStridesCD, emitAddressSetupCode */
s_mul_i32 s54, s[sgprStrideC1J], 52                // scale stride
_v_add_u32 v2, v2, s54                             // ROWINC- Move cinRowPtr to next row
s_mul_i32 s54, s[sgprStrideD1J], 52                // scale stride
_v_add_u32 v3, v3, s54                             // Move coutRowPtr to next row
v_cmp_lt_u32 s[54:55], v0, s[sgprSizeI]            // coord0 < size0
v_cmp_lt_u32 s[58:59], v1, s[sgprSizeJ]            // coord1 < size1
s_and_b64 s[58:59], s[54:55], s[58:59]             // in0 && in1
_v_add_lshl_u32 v202, v2, v0, 0x3                  // scaleToBpe: accumulate d0 lower and *= bpe into Cin addr
v_cndmask_b32 v202, -1, v202, s[58:59]             // LDC clip if OOB. offset
_v_add_lshl_u32 v197, v3, v0, 0x3                  // scaleToBpe: accumulate d0 lower and *= bpe into Cin addr
v_cndmask_b32 v197, -1, v197, s[58:59]             // LDD clip if OOB. offset
/* (d1,vc1,d0,vc0)=(4,0,1,0) */
_v_add_co_u32 v4, vcc, v0, 16                      // coord0.1: coord0 += d0*sg0*VW + vc0
v_cmp_lt_u32 s[54:55], v4, s[sgprSizeI]            // coord0 < size0
v_cmp_lt_u32 s[58:59], v1, s[sgprSizeJ]            // coord1 < size1
s_and_b64 s[58:59], s[54:55], s[58:59]             // in0 && in1
_v_add_lshl_u32 v208, v2, v4, 0x3                  // scaleToBpe: accumulate d0 lower and *= bpe into Cin addr
v_cndmask_b32 v208, -1, v208, s[58:59]             // LDC clip if OOB. offset
_v_add_lshl_u32 v203, v3, v4, 0x3                  // scaleToBpe: accumulate d0 lower and *= bpe into Cin addr
v_cndmask_b32 v203, -1, v203, s[58:59]             // LDD clip if OOB. offset
/* (d1,vc1,d0,vc0)=(4,0,2,0) */
_v_add_co_u32 v4, vcc, v0, 32                      // coord0.1: coord0 += d0*sg0*VW + vc0
	;; [unrolled: 9-line block ×4, first 2 shown]
v_cmp_lt_u32 s[54:55], v4, s[sgprSizeI]            // coord0 < size0
v_cmp_lt_u32 s[58:59], v1, s[sgprSizeJ]            // coord1 < size1
s_and_b64 s[58:59], s[54:55], s[58:59]             // in0 && in1
_v_add_lshl_u32 v226, v2, v4, 0x3                  // scaleToBpe: accumulate d0 lower and *= bpe into Cin addr
v_cndmask_b32 v226, -1, v226, s[58:59]             // LDC clip if OOB. offset
_v_add_lshl_u32 v221, v3, v4, 0x3                  // scaleToBpe: accumulate d0 lower and *= bpe into Cin addr
v_cndmask_b32 v221, -1, v221, s[58:59]             // LDD clip if OOB. offset
/* (d1,vc1,d0,vc0)=(4,0,5,0) */
s_mov_b32 s54, 80                                  // coordOffset0 d0=5 vc0=0
_v_add_co_u32 v4, vcc, v0, s54                     // coord0.2: coord0 += d0*sg0*VW + vc0
v_cmp_lt_u32 s[54:55], v4, s[sgprSizeI]            // coord0 < size0
v_cmp_lt_u32 s[58:59], v1, s[sgprSizeJ]            // coord1 < size1
s_and_b64 s[58:59], s[54:55], s[58:59]             // in0 && in1
_v_add_lshl_u32 v232, v2, v4, 0x3                  // scaleToBpe: accumulate d0 lower and *= bpe into Cin addr
v_cndmask_b32 v232, -1, v232, s[58:59]             // LDC clip if OOB. offset
_v_add_lshl_u32 v227, v3, v4, 0x3                  // scaleToBpe: accumulate d0 lower and *= bpe into Cin addr
v_cndmask_b32 v227, -1, v227, s[58:59]             // LDD clip if OOB. offset
/* (d1,vc1,d0,vc0)=(4,0,6,0) */
s_mov_b32 s54, 96                                  // coordOffset0 d0=6 vc0=0
_v_add_co_u32 v4, vcc, v0, s54                     // coord0.2: coord0 += d0*sg0*VW + vc0
v_cmp_lt_u32 s[54:55], v4, s[sgprSizeI]            // coord0 < size0
v_cmp_lt_u32 s[58:59], v1, s[sgprSizeJ]            // coord1 < size1
s_and_b64 s[58:59], s[54:55], s[58:59]             // in0 && in1
_v_add_lshl_u32 v238, v2, v4, 0x3                  // scaleToBpe: accumulate d0 lower and *= bpe into Cin addr
v_cndmask_b32 v238, -1, v238, s[58:59]             // LDC clip if OOB. offset
_v_add_lshl_u32 v233, v3, v4, 0x3                  // scaleToBpe: accumulate d0 lower and *= bpe into Cin addr
v_cndmask_b32 v233, -1, v233, s[58:59]             // LDD clip if OOB. offset
/* (d1,vc1,d0,vc0)=(4,0,7,0) */
s_mov_b32 s54, 112                                 // coordOffset0 d0=7 vc0=0
_v_add_co_u32 v4, vcc, v0, s54                     // coord0.2: coord0 += d0*sg0*VW + vc0
v_cmp_lt_u32 s[54:55], v4, s[sgprSizeI]            // coord0 < size0
v_cmp_lt_u32 s[58:59], v1, s[sgprSizeJ]            // coord1 < size1
s_and_b64 s[58:59], s[54:55], s[58:59]             // in0 && in1
_v_add_lshl_u32 v244, v2, v4, 0x3                  // scaleToBpe: accumulate d0 lower and *= bpe into Cin addr
v_cndmask_b32 v244, -1, v244, s[58:59]             // LDC clip if OOB. offset
_v_add_lshl_u32 v239, v3, v4, 0x3                  // scaleToBpe: accumulate d0 lower and *= bpe into Cin addr
v_cndmask_b32 v239, -1, v239, s[58:59]             // LDD clip if OOB. offset
_buffer_load_b64 v[8:9], v7, s[sgprSrdC:sgprSrdC+3], 0, offen offset:0,  sc0 sc1 // load C for beta calc
_buffer_load_b64 v[14:15], v13, s[sgprSrdC:sgprSrdC+3], 0, offen offset:0,  sc0 sc1 // load C for beta calc
	;; [unrolled: 1-line block ×40, first 2 shown]
s_sleep 7 // optimization: sync and wait
s_barrier
v_accvgpr_read_b32 v[vgprValuC+10], acc0 // copy acc to vreg[0]
v_accvgpr_read_b32 v[vgprValuC+11], acc1 // copy acc to vreg[1]
v_accvgpr_read_b32 v[vgprValuC+16], acc8 // copy acc to vreg[2]
v_accvgpr_read_b32 v[vgprValuC+17], acc9 // copy acc to vreg[3]
v_accvgpr_read_b32 v[vgprValuC+22], acc16 // copy acc to vreg[4]
v_accvgpr_read_b32 v[vgprValuC+23], acc17 // copy acc to vreg[5]
v_accvgpr_read_b32 v[vgprValuC+28], acc24 // copy acc to vreg[6]
v_accvgpr_read_b32 v[vgprValuC+29], acc25 // copy acc to vreg[7]
v_accvgpr_read_b32 v[vgprValuC+34], acc32 // copy acc to vreg[8]
v_accvgpr_read_b32 v[vgprValuC+35], acc33 // copy acc to vreg[9]
v_accvgpr_read_b32 v[vgprValuC+40], acc40 // copy acc to vreg[10]
v_accvgpr_read_b32 v[vgprValuC+41], acc41 // copy acc to vreg[11]
v_accvgpr_read_b32 v[vgprValuC+46], acc48 // copy acc to vreg[12]
v_accvgpr_read_b32 v[vgprValuC+47], acc49 // copy acc to vreg[13]
v_accvgpr_read_b32 v[vgprValuC+52], acc56 // copy acc to vreg[14]
v_accvgpr_read_b32 v[vgprValuC+53], acc57 // copy acc to vreg[15]
v_accvgpr_read_b32 v[vgprValuC+58], acc2 // copy acc to vreg[16]
v_accvgpr_read_b32 v[vgprValuC+59], acc3 // copy acc to vreg[17]
v_accvgpr_read_b32 v[vgprValuC+64], acc10 // copy acc to vreg[18]
v_accvgpr_read_b32 v[vgprValuC+65], acc11 // copy acc to vreg[19]
v_accvgpr_read_b32 v[vgprValuC+70], acc18 // copy acc to vreg[20]
v_accvgpr_read_b32 v[vgprValuC+71], acc19 // copy acc to vreg[21]
v_accvgpr_read_b32 v[vgprValuC+76], acc26 // copy acc to vreg[22]
v_accvgpr_read_b32 v[vgprValuC+77], acc27 // copy acc to vreg[23]
v_accvgpr_read_b32 v[vgprValuC+82], acc34 // copy acc to vreg[24]
v_accvgpr_read_b32 v[vgprValuC+83], acc35 // copy acc to vreg[25]
v_accvgpr_read_b32 v[vgprValuC+88], acc42 // copy acc to vreg[26]
v_accvgpr_read_b32 v[vgprValuC+89], acc43 // copy acc to vreg[27]
v_accvgpr_read_b32 v[vgprValuC+94], acc50 // copy acc to vreg[28]
v_accvgpr_read_b32 v[vgprValuC+95], acc51 // copy acc to vreg[29]
v_accvgpr_read_b32 v[vgprValuC+100], acc58 // copy acc to vreg[30]
v_accvgpr_read_b32 v[vgprValuC+101], acc59 // copy acc to vreg[31]
v_accvgpr_read_b32 v[vgprValuC+106], acc4 // copy acc to vreg[32]
v_accvgpr_read_b32 v[vgprValuC+107], acc5 // copy acc to vreg[33]
v_accvgpr_read_b32 v[vgprValuC+112], acc12 // copy acc to vreg[34]
v_accvgpr_read_b32 v[vgprValuC+113], acc13 // copy acc to vreg[35]
v_accvgpr_read_b32 v[vgprValuC+118], acc20 // copy acc to vreg[36]
v_accvgpr_read_b32 v[vgprValuC+119], acc21 // copy acc to vreg[37]
v_accvgpr_read_b32 v[vgprValuC+128], acc28 // copy acc to vreg[38]
v_accvgpr_read_b32 v[vgprValuC+129], acc29 // copy acc to vreg[39]
v_accvgpr_read_b32 v[vgprValuC+134], acc36 // copy acc to vreg[40]
v_accvgpr_read_b32 v[vgprValuC+135], acc37 // copy acc to vreg[41]
v_accvgpr_read_b32 v[vgprValuC+140], acc44 // copy acc to vreg[42]
v_accvgpr_read_b32 v[vgprValuC+141], acc45 // copy acc to vreg[43]
v_accvgpr_read_b32 v[vgprValuC+146], acc52 // copy acc to vreg[44]
v_accvgpr_read_b32 v[vgprValuC+147], acc53 // copy acc to vreg[45]
v_accvgpr_read_b32 v[vgprValuC+152], acc60 // copy acc to vreg[46]
v_accvgpr_read_b32 v[vgprValuC+153], acc61 // copy acc to vreg[47]
v_accvgpr_read_b32 v[vgprValuC+158], acc6 // copy acc to vreg[48]
v_accvgpr_read_b32 v[vgprValuC+159], acc7 // copy acc to vreg[49]
v_accvgpr_read_b32 v[vgprValuC+164], acc14 // copy acc to vreg[50]
v_accvgpr_read_b32 v[vgprValuC+165], acc15 // copy acc to vreg[51]
v_accvgpr_read_b32 v[vgprValuC+170], acc22 // copy acc to vreg[52]
v_accvgpr_read_b32 v[vgprValuC+171], acc23 // copy acc to vreg[53]
v_accvgpr_read_b32 v[vgprValuC+176], acc30 // copy acc to vreg[54]
v_accvgpr_read_b32 v[vgprValuC+177], acc31 // copy acc to vreg[55]
v_accvgpr_read_b32 v[vgprValuC+182], acc38 // copy acc to vreg[56]
v_accvgpr_read_b32 v[vgprValuC+183], acc39 // copy acc to vreg[57]
v_accvgpr_read_b32 v[vgprValuC+188], acc46 // copy acc to vreg[58]
v_accvgpr_read_b32 v[vgprValuC+189], acc47 // copy acc to vreg[59]
v_accvgpr_read_b32 v[vgprValuC+194], acc54 // copy acc to vreg[60]
v_accvgpr_read_b32 v[vgprValuC+195], acc55 // copy acc to vreg[61]
v_accvgpr_read_b32 v[vgprValuC+200], acc62 // copy acc to vreg[62]
v_accvgpr_read_b32 v[vgprValuC+201], acc63 // copy acc to vreg[63]
v_accvgpr_read_b32 v[vgprValuC+206], acc64 // copy acc to vreg[64]
v_accvgpr_read_b32 v[vgprValuC+207], acc65 // copy acc to vreg[65]
v_accvgpr_read_b32 v[vgprValuC+212], acc72 // copy acc to vreg[66]
v_accvgpr_read_b32 v[vgprValuC+213], acc73 // copy acc to vreg[67]
v_accvgpr_read_b32 v[vgprValuC+218], acc80 // copy acc to vreg[68]
v_accvgpr_read_b32 v[vgprValuC+219], acc81 // copy acc to vreg[69]
v_accvgpr_read_b32 v[vgprValuC+224], acc88 // copy acc to vreg[70]
v_accvgpr_read_b32 v[vgprValuC+225], acc89 // copy acc to vreg[71]
v_accvgpr_read_b32 v[vgprValuC+230], acc96 // copy acc to vreg[72]
v_accvgpr_read_b32 v[vgprValuC+231], acc97 // copy acc to vreg[73]
v_accvgpr_read_b32 v[vgprValuC+236], acc104 // copy acc to vreg[74]
v_accvgpr_read_b32 v[vgprValuC+237], acc105 // copy acc to vreg[75]
v_accvgpr_read_b32 v[vgprValuC+242], acc112 // copy acc to vreg[76]
v_accvgpr_read_b32 v[vgprValuC+243], acc113 // copy acc to vreg[77]
v_accvgpr_read_b32 v[vgprValuC+248], acc120 // copy acc to vreg[78]
v_accvgpr_read_b32 v[vgprValuC+249], acc121 // copy acc to vreg[79]
s_nop 1                                            // 2 wait states required before reading vgpr

/* rC *= alpha batchElements=[(0, 0, 0, 0), (0, 1, 0, 0), (0, 2, 0, 0), (0, 3, 0, 0), (0, 4, 0, 0), (0, 5, 0, 0), (0, 6, 0, 0), (0, 7, 0, 0), (1, 0, 0, 0), (1, 1, 0, 0), (1, 2, 0, 0), (1, 3, 0, 0), (1, 4, 0, 0), (1, 5, 0, 0), (1, 6, 0, 0), (1, 7, 0, 0), (2, 0, 0, 0), (2, 1, 0, 0), (2, 2, 0, 0), (2, 3, 0, 0), (2, 4, 0, 0), (2, 5, 0, 0), (2, 6, 0, 0), (2, 7, 0, 0), (3, 0, 0, 0), (3, 1, 0, 0), (3, 2, 0, 0), (3, 3, 0, 0), (3, 4, 0, 0), (3, 5, 0, 0), (3, 6, 0, 0), (3, 7, 0, 0), (4, 0, 0, 0), (4, 1, 0, 0), (4, 2, 0, 0), (4, 3, 0, 0), (4, 4, 0, 0), (4, 5, 0, 0), (4, 6, 0, 0), (4, 7, 0, 0)] */
v_mul_f64 v[vgprValuC+10:vgprValuC+10+1], s[sgprAlpha:sgprAlpha+1], v[vgprValuC+10:vgprValuC+10+1] // *= alpha
v_mul_f64 v[vgprValuC+16:vgprValuC+16+1], s[sgprAlpha:sgprAlpha+1], v[vgprValuC+16:vgprValuC+16+1] // *= alpha
	;; [unrolled: 1-line block ×40, first 2 shown]
s_waitcnt vmcnt(0)                                 // wait C

/* apply mask, calc new C and issue writes */
v_fma_f64 v[vgprValuC+10:vgprValuC+10+1], v[8:9], s[sgprBeta:sgprBeta+1], v[vgprValuC+10:vgprValuC+10+1] // finalSum = sum*alpha + C*beta
v_fma_f64 v[vgprValuC+16:vgprValuC+16+1], v[14:15], s[sgprBeta:sgprBeta+1], v[vgprValuC+16:vgprValuC+16+1] // finalSum = sum*alpha + C*beta
	;; [unrolled: 1-line block ×40, first 2 shown]
_buffer_store_b64 v[10:11], v6, s[sgprSrdD:sgprSrdD+3], 0, offen, offset:0,  sc0 sc1 // store D
_buffer_store_b64 v[16:17], v12, s[sgprSrdD:sgprSrdD+3], 0, offen, offset:0,  sc0 sc1 // store D
	;; [unrolled: 1-line block ×40, first 2 shown]
s_nop 0                                            // 1 wait state required when next inst writes vgprs held by previous dwordx4 store inst
/* optSingleColVgpr=0 optSharedColVgpr=0 optSGPRUsage=BufferLoad_Edge_Mask optSrdIncForRow=0 */
s_sleep 7 // optimization: sync and wait
s_barrier

/******************************************/
/* Global Write Alpha Beta Edge Batch #1 (d1,d0,vc1,vc0) = */
/*    (5,0,0,0:vw1); (5,1,0,0:vw1); (5,2,0,0:vw1); (5,3,0,0:vw1); (5,4,0,0:vw1); (5,5,0,0:vw1); (5,6,0,0:vw1); (5,7,0,0:vw1); (6,0,0,0:vw1); (6,1,0,0:vw1); (6,2,0,0:vw1); (6,3,0,0:vw1); (6,4,0,0:vw1); (6,5,0,0:vw1); (6,6,0,0:vw1); (6,7,0,0:vw1); (7,0,0,0:vw1); (7,1,0,0:vw1); (7,2,0,0:vw1); (7,3,0,0:vw1); (7,4,0,0:vw1); (7,5,0,0:vw1); (7,6,0,0:vw1); (7,7,0,0:vw1) */
/******************************************/

/* calc coords, apply mask, and issue loads (if necessary) */
/* (d1,vc1,d0,vc0)=(5,0,0,0) */
_v_add_co_u32 v1, vcc, v1, 4                       // coord1.1: coord1Vgpr += d1*sg1*VW + vc1

/* Fix for UseInitialStridesCD, emitAddressSetupCode */
s_mul_i32 s54, s[sgprStrideC1J], 4                 // scale stride
_v_add_u32 v2, v2, s54                             // ROWINC- Move cinRowPtr to next row
s_mul_i32 s54, s[sgprStrideD1J], 4                 // scale stride
_v_add_u32 v3, v3, s54                             // Move coutRowPtr to next row
v_cmp_lt_u32 s[54:55], v0, s[sgprSizeI]            // coord0 < size0
v_cmp_lt_u32 s[58:59], v1, s[sgprSizeJ]            // coord1 < size1
s_and_b64 s[58:59], s[54:55], s[58:59]             // in0 && in1
_v_add_lshl_u32 v7, v2, v0, 0x3                    // scaleToBpe: accumulate d0 lower and *= bpe into Cin addr
v_cndmask_b32 v7, -1, v7, s[58:59]                 // LDC clip if OOB. offset
_v_add_lshl_u32 v6, v3, v0, 0x3                    // scaleToBpe: accumulate d0 lower and *= bpe into Cin addr
v_cndmask_b32 v6, -1, v6, s[58:59]                 // LDD clip if OOB. offset
/* (d1,vc1,d0,vc0)=(5,0,1,0) */
_v_add_co_u32 v4, vcc, v0, 16                      // coord0.1: coord0 += d0*sg0*VW + vc0
v_cmp_lt_u32 s[54:55], v4, s[sgprSizeI]            // coord0 < size0
v_cmp_lt_u32 s[58:59], v1, s[sgprSizeJ]            // coord1 < size1
s_and_b64 s[58:59], s[54:55], s[58:59]             // in0 && in1
_v_add_lshl_u32 v13, v2, v4, 0x3                   // scaleToBpe: accumulate d0 lower and *= bpe into Cin addr
v_cndmask_b32 v13, -1, v13, s[58:59]               // LDC clip if OOB. offset
_v_add_lshl_u32 v12, v3, v4, 0x3                   // scaleToBpe: accumulate d0 lower and *= bpe into Cin addr
v_cndmask_b32 v12, -1, v12, s[58:59]               // LDD clip if OOB. offset
/* (d1,vc1,d0,vc0)=(5,0,2,0) */
_v_add_co_u32 v4, vcc, v0, 32                      // coord0.1: coord0 += d0*sg0*VW + vc0
v_cmp_lt_u32 s[54:55], v4, s[sgprSizeI]            // coord0 < size0
v_cmp_lt_u32 s[58:59], v1, s[sgprSizeJ]            // coord1 < size1
s_and_b64 s[58:59], s[54:55], s[58:59]             // in0 && in1
_v_add_lshl_u32 v19, v2, v4, 0x3                   // scaleToBpe: accumulate d0 lower and *= bpe into Cin addr
v_cndmask_b32 v19, -1, v19, s[58:59]               // LDC clip if OOB. offset
_v_add_lshl_u32 v18, v3, v4, 0x3                   // scaleToBpe: accumulate d0 lower and *= bpe into Cin addr
v_cndmask_b32 v18, -1, v18, s[58:59]               // LDD clip if OOB. offset
	;; [unrolled: 9-line block ×4, first 2 shown]
/* (d1,vc1,d0,vc0)=(5,0,5,0) */
s_mov_b32 s54, 80                                  // coordOffset0 d0=5 vc0=0
_v_add_co_u32 v4, vcc, v0, s54                     // coord0.2: coord0 += d0*sg0*VW + vc0
v_cmp_lt_u32 s[54:55], v4, s[sgprSizeI]            // coord0 < size0
v_cmp_lt_u32 s[58:59], v1, s[sgprSizeJ]            // coord1 < size1
s_and_b64 s[58:59], s[54:55], s[58:59]             // in0 && in1
_v_add_lshl_u32 v37, v2, v4, 0x3                   // scaleToBpe: accumulate d0 lower and *= bpe into Cin addr
v_cndmask_b32 v37, -1, v37, s[58:59]               // LDC clip if OOB. offset
_v_add_lshl_u32 v36, v3, v4, 0x3                   // scaleToBpe: accumulate d0 lower and *= bpe into Cin addr
v_cndmask_b32 v36, -1, v36, s[58:59]               // LDD clip if OOB. offset
/* (d1,vc1,d0,vc0)=(5,0,6,0) */
s_mov_b32 s54, 96                                  // coordOffset0 d0=6 vc0=0
_v_add_co_u32 v4, vcc, v0, s54                     // coord0.2: coord0 += d0*sg0*VW + vc0
v_cmp_lt_u32 s[54:55], v4, s[sgprSizeI]            // coord0 < size0
v_cmp_lt_u32 s[58:59], v1, s[sgprSizeJ]            // coord1 < size1
s_and_b64 s[58:59], s[54:55], s[58:59]             // in0 && in1
_v_add_lshl_u32 v43, v2, v4, 0x3                   // scaleToBpe: accumulate d0 lower and *= bpe into Cin addr
v_cndmask_b32 v43, -1, v43, s[58:59]               // LDC clip if OOB. offset
_v_add_lshl_u32 v42, v3, v4, 0x3                   // scaleToBpe: accumulate d0 lower and *= bpe into Cin addr
v_cndmask_b32 v42, -1, v42, s[58:59]               // LDD clip if OOB. offset
/* (d1,vc1,d0,vc0)=(5,0,7,0) */
s_mov_b32 s54, 112                                 // coordOffset0 d0=7 vc0=0
_v_add_co_u32 v4, vcc, v0, s54                     // coord0.2: coord0 += d0*sg0*VW + vc0
v_cmp_lt_u32 s[54:55], v4, s[sgprSizeI]            // coord0 < size0
v_cmp_lt_u32 s[58:59], v1, s[sgprSizeJ]            // coord1 < size1
s_and_b64 s[58:59], s[54:55], s[58:59]             // in0 && in1
_v_add_lshl_u32 v49, v2, v4, 0x3                   // scaleToBpe: accumulate d0 lower and *= bpe into Cin addr
v_cndmask_b32 v49, -1, v49, s[58:59]               // LDC clip if OOB. offset
_v_add_lshl_u32 v48, v3, v4, 0x3                   // scaleToBpe: accumulate d0 lower and *= bpe into Cin addr
v_cndmask_b32 v48, -1, v48, s[58:59]               // LDD clip if OOB. offset
/* (d1,vc1,d0,vc0)=(6,0,0,0) */
_v_add_co_u32 v1, vcc, v1, 4                       // coord1.1: coord1Vgpr += d1*sg1*VW + vc1

/* Fix for UseInitialStridesCD, emitAddressSetupCode */
s_mul_i32 s54, s[sgprStrideC1J], 4                 // scale stride
_v_add_u32 v2, v2, s54                             // ROWINC- Move cinRowPtr to next row
s_mul_i32 s54, s[sgprStrideD1J], 4                 // scale stride
_v_add_u32 v3, v3, s54                             // Move coutRowPtr to next row
v_cmp_lt_u32 s[54:55], v0, s[sgprSizeI]            // coord0 < size0
v_cmp_lt_u32 s[58:59], v1, s[sgprSizeJ]            // coord1 < size1
s_and_b64 s[58:59], s[54:55], s[58:59]             // in0 && in1
_v_add_lshl_u32 v55, v2, v0, 0x3                   // scaleToBpe: accumulate d0 lower and *= bpe into Cin addr
v_cndmask_b32 v55, -1, v55, s[58:59]               // LDC clip if OOB. offset
_v_add_lshl_u32 v54, v3, v0, 0x3                   // scaleToBpe: accumulate d0 lower and *= bpe into Cin addr
v_cndmask_b32 v54, -1, v54, s[58:59]               // LDD clip if OOB. offset
/* (d1,vc1,d0,vc0)=(6,0,1,0) */
_v_add_co_u32 v4, vcc, v0, 16                      // coord0.1: coord0 += d0*sg0*VW + vc0
v_cmp_lt_u32 s[54:55], v4, s[sgprSizeI]            // coord0 < size0
v_cmp_lt_u32 s[58:59], v1, s[sgprSizeJ]            // coord1 < size1
s_and_b64 s[58:59], s[54:55], s[58:59]             // in0 && in1
_v_add_lshl_u32 v61, v2, v4, 0x3                   // scaleToBpe: accumulate d0 lower and *= bpe into Cin addr
v_cndmask_b32 v61, -1, v61, s[58:59]               // LDC clip if OOB. offset
_v_add_lshl_u32 v60, v3, v4, 0x3                   // scaleToBpe: accumulate d0 lower and *= bpe into Cin addr
v_cndmask_b32 v60, -1, v60, s[58:59]               // LDD clip if OOB. offset
/* (d1,vc1,d0,vc0)=(6,0,2,0) */
_v_add_co_u32 v4, vcc, v0, 32                      // coord0.1: coord0 += d0*sg0*VW + vc0
	;; [unrolled: 9-line block ×4, first 2 shown]
v_cmp_lt_u32 s[54:55], v4, s[sgprSizeI]            // coord0 < size0
v_cmp_lt_u32 s[58:59], v1, s[sgprSizeJ]            // coord1 < size1
s_and_b64 s[58:59], s[54:55], s[58:59]             // in0 && in1
_v_add_lshl_u32 v79, v2, v4, 0x3                   // scaleToBpe: accumulate d0 lower and *= bpe into Cin addr
v_cndmask_b32 v79, -1, v79, s[58:59]               // LDC clip if OOB. offset
_v_add_lshl_u32 v78, v3, v4, 0x3                   // scaleToBpe: accumulate d0 lower and *= bpe into Cin addr
v_cndmask_b32 v78, -1, v78, s[58:59]               // LDD clip if OOB. offset
/* (d1,vc1,d0,vc0)=(6,0,5,0) */
s_mov_b32 s54, 80                                  // coordOffset0 d0=5 vc0=0
_v_add_co_u32 v4, vcc, v0, s54                     // coord0.2: coord0 += d0*sg0*VW + vc0
v_cmp_lt_u32 s[54:55], v4, s[sgprSizeI]            // coord0 < size0
v_cmp_lt_u32 s[58:59], v1, s[sgprSizeJ]            // coord1 < size1
s_and_b64 s[58:59], s[54:55], s[58:59]             // in0 && in1
_v_add_lshl_u32 v85, v2, v4, 0x3                   // scaleToBpe: accumulate d0 lower and *= bpe into Cin addr
v_cndmask_b32 v85, -1, v85, s[58:59]               // LDC clip if OOB. offset
_v_add_lshl_u32 v84, v3, v4, 0x3                   // scaleToBpe: accumulate d0 lower and *= bpe into Cin addr
v_cndmask_b32 v84, -1, v84, s[58:59]               // LDD clip if OOB. offset
/* (d1,vc1,d0,vc0)=(6,0,6,0) */
s_mov_b32 s54, 96                                  // coordOffset0 d0=6 vc0=0
_v_add_co_u32 v4, vcc, v0, s54                     // coord0.2: coord0 += d0*sg0*VW + vc0
v_cmp_lt_u32 s[54:55], v4, s[sgprSizeI]            // coord0 < size0
v_cmp_lt_u32 s[58:59], v1, s[sgprSizeJ]            // coord1 < size1
s_and_b64 s[58:59], s[54:55], s[58:59]             // in0 && in1
_v_add_lshl_u32 v91, v2, v4, 0x3                   // scaleToBpe: accumulate d0 lower and *= bpe into Cin addr
v_cndmask_b32 v91, -1, v91, s[58:59]               // LDC clip if OOB. offset
_v_add_lshl_u32 v90, v3, v4, 0x3                   // scaleToBpe: accumulate d0 lower and *= bpe into Cin addr
v_cndmask_b32 v90, -1, v90, s[58:59]               // LDD clip if OOB. offset
/* (d1,vc1,d0,vc0)=(6,0,7,0) */
s_mov_b32 s54, 112                                 // coordOffset0 d0=7 vc0=0
_v_add_co_u32 v4, vcc, v0, s54                     // coord0.2: coord0 += d0*sg0*VW + vc0
v_cmp_lt_u32 s[54:55], v4, s[sgprSizeI]            // coord0 < size0
v_cmp_lt_u32 s[58:59], v1, s[sgprSizeJ]            // coord1 < size1
s_and_b64 s[58:59], s[54:55], s[58:59]             // in0 && in1
_v_add_lshl_u32 v97, v2, v4, 0x3                   // scaleToBpe: accumulate d0 lower and *= bpe into Cin addr
v_cndmask_b32 v97, -1, v97, s[58:59]               // LDC clip if OOB. offset
_v_add_lshl_u32 v96, v3, v4, 0x3                   // scaleToBpe: accumulate d0 lower and *= bpe into Cin addr
v_cndmask_b32 v96, -1, v96, s[58:59]               // LDD clip if OOB. offset
/* (d1,vc1,d0,vc0)=(7,0,0,0) */
_v_add_co_u32 v1, vcc, v1, 4                       // coord1.1: coord1Vgpr += d1*sg1*VW + vc1

/* Fix for UseInitialStridesCD, emitAddressSetupCode */
s_mul_i32 s54, s[sgprStrideC1J], 4                 // scale stride
_v_add_u32 v2, v2, s54                             // ROWINC- Move cinRowPtr to next row
s_mul_i32 s54, s[sgprStrideD1J], 4                 // scale stride
_v_add_u32 v3, v3, s54                             // Move coutRowPtr to next row
v_cmp_lt_u32 s[54:55], v0, s[sgprSizeI]            // coord0 < size0
v_cmp_lt_u32 s[58:59], v1, s[sgprSizeJ]            // coord1 < size1
s_and_b64 s[58:59], s[54:55], s[58:59]             // in0 && in1
_v_add_lshl_u32 v103, v2, v0, 0x3                  // scaleToBpe: accumulate d0 lower and *= bpe into Cin addr
v_cndmask_b32 v103, -1, v103, s[58:59]             // LDC clip if OOB. offset
_v_add_lshl_u32 v102, v3, v0, 0x3                  // scaleToBpe: accumulate d0 lower and *= bpe into Cin addr
v_cndmask_b32 v102, -1, v102, s[58:59]             // LDD clip if OOB. offset
/* (d1,vc1,d0,vc0)=(7,0,1,0) */
_v_add_co_u32 v4, vcc, v0, 16                      // coord0.1: coord0 += d0*sg0*VW + vc0
v_cmp_lt_u32 s[54:55], v4, s[sgprSizeI]            // coord0 < size0
v_cmp_lt_u32 s[58:59], v1, s[sgprSizeJ]            // coord1 < size1
s_and_b64 s[58:59], s[54:55], s[58:59]             // in0 && in1
_v_add_lshl_u32 v109, v2, v4, 0x3                  // scaleToBpe: accumulate d0 lower and *= bpe into Cin addr
v_cndmask_b32 v109, -1, v109, s[58:59]             // LDC clip if OOB. offset
_v_add_lshl_u32 v108, v3, v4, 0x3                  // scaleToBpe: accumulate d0 lower and *= bpe into Cin addr
v_cndmask_b32 v108, -1, v108, s[58:59]             // LDD clip if OOB. offset
/* (d1,vc1,d0,vc0)=(7,0,2,0) */
_v_add_co_u32 v4, vcc, v0, 32                      // coord0.1: coord0 += d0*sg0*VW + vc0
	;; [unrolled: 9-line block ×4, first 2 shown]
v_cmp_lt_u32 s[54:55], v4, s[sgprSizeI]            // coord0 < size0
v_cmp_lt_u32 s[58:59], v1, s[sgprSizeJ]            // coord1 < size1
s_and_b64 s[58:59], s[54:55], s[58:59]             // in0 && in1
_v_add_lshl_u32 v130, v2, v4, 0x3                  // scaleToBpe: accumulate d0 lower and *= bpe into Cin addr
v_cndmask_b32 v130, -1, v130, s[58:59]             // LDC clip if OOB. offset
_v_add_lshl_u32 v125, v3, v4, 0x3                  // scaleToBpe: accumulate d0 lower and *= bpe into Cin addr
v_cndmask_b32 v125, -1, v125, s[58:59]             // LDD clip if OOB. offset
/* (d1,vc1,d0,vc0)=(7,0,5,0) */
s_mov_b32 s54, 80                                  // coordOffset0 d0=5 vc0=0
_v_add_co_u32 v4, vcc, v0, s54                     // coord0.2: coord0 += d0*sg0*VW + vc0
v_cmp_lt_u32 s[54:55], v4, s[sgprSizeI]            // coord0 < size0
v_cmp_lt_u32 s[58:59], v1, s[sgprSizeJ]            // coord1 < size1
s_and_b64 s[58:59], s[54:55], s[58:59]             // in0 && in1
_v_add_lshl_u32 v136, v2, v4, 0x3                  // scaleToBpe: accumulate d0 lower and *= bpe into Cin addr
v_cndmask_b32 v136, -1, v136, s[58:59]             // LDC clip if OOB. offset
_v_add_lshl_u32 v131, v3, v4, 0x3                  // scaleToBpe: accumulate d0 lower and *= bpe into Cin addr
v_cndmask_b32 v131, -1, v131, s[58:59]             // LDD clip if OOB. offset
/* (d1,vc1,d0,vc0)=(7,0,6,0) */
s_mov_b32 s54, 96                                  // coordOffset0 d0=6 vc0=0
_v_add_co_u32 v4, vcc, v0, s54                     // coord0.2: coord0 += d0*sg0*VW + vc0
v_cmp_lt_u32 s[54:55], v4, s[sgprSizeI]            // coord0 < size0
v_cmp_lt_u32 s[58:59], v1, s[sgprSizeJ]            // coord1 < size1
s_and_b64 s[58:59], s[54:55], s[58:59]             // in0 && in1
_v_add_lshl_u32 v142, v2, v4, 0x3                  // scaleToBpe: accumulate d0 lower and *= bpe into Cin addr
v_cndmask_b32 v142, -1, v142, s[58:59]             // LDC clip if OOB. offset
_v_add_lshl_u32 v137, v3, v4, 0x3                  // scaleToBpe: accumulate d0 lower and *= bpe into Cin addr
v_cndmask_b32 v137, -1, v137, s[58:59]             // LDD clip if OOB. offset
/* (d1,vc1,d0,vc0)=(7,0,7,0) */
s_mov_b32 s54, 112                                 // coordOffset0 d0=7 vc0=0
_v_add_co_u32 v4, vcc, v0, s54                     // coord0.2: coord0 += d0*sg0*VW + vc0
v_cmp_lt_u32 s[54:55], v4, s[sgprSizeI]            // coord0 < size0
v_cmp_lt_u32 s[58:59], v1, s[sgprSizeJ]            // coord1 < size1
s_and_b64 s[58:59], s[54:55], s[58:59]             // in0 && in1
_v_add_lshl_u32 v148, v2, v4, 0x3                  // scaleToBpe: accumulate d0 lower and *= bpe into Cin addr
v_cndmask_b32 v148, -1, v148, s[58:59]             // LDC clip if OOB. offset
_v_add_lshl_u32 v143, v3, v4, 0x3                  // scaleToBpe: accumulate d0 lower and *= bpe into Cin addr
v_cndmask_b32 v143, -1, v143, s[58:59]             // LDD clip if OOB. offset
_buffer_load_b64 v[8:9], v7, s[sgprSrdC:sgprSrdC+3], 0, offen offset:0,  sc0 sc1 // load C for beta calc
_buffer_load_b64 v[14:15], v13, s[sgprSrdC:sgprSrdC+3], 0, offen offset:0,  sc0 sc1 // load C for beta calc
	;; [unrolled: 1-line block ×24, first 2 shown]
s_sleep 7 // optimization: sync and wait
s_barrier
v_accvgpr_read_b32 v[vgprValuC+10], acc66 // copy acc to vreg[80]
v_accvgpr_read_b32 v[vgprValuC+11], acc67 // copy acc to vreg[81]
v_accvgpr_read_b32 v[vgprValuC+16], acc74 // copy acc to vreg[82]
v_accvgpr_read_b32 v[vgprValuC+17], acc75 // copy acc to vreg[83]
v_accvgpr_read_b32 v[vgprValuC+22], acc82 // copy acc to vreg[84]
v_accvgpr_read_b32 v[vgprValuC+23], acc83 // copy acc to vreg[85]
v_accvgpr_read_b32 v[vgprValuC+28], acc90 // copy acc to vreg[86]
v_accvgpr_read_b32 v[vgprValuC+29], acc91 // copy acc to vreg[87]
v_accvgpr_read_b32 v[vgprValuC+34], acc98 // copy acc to vreg[88]
v_accvgpr_read_b32 v[vgprValuC+35], acc99 // copy acc to vreg[89]
v_accvgpr_read_b32 v[vgprValuC+40], acc106 // copy acc to vreg[90]
v_accvgpr_read_b32 v[vgprValuC+41], acc107 // copy acc to vreg[91]
v_accvgpr_read_b32 v[vgprValuC+46], acc114 // copy acc to vreg[92]
v_accvgpr_read_b32 v[vgprValuC+47], acc115 // copy acc to vreg[93]
v_accvgpr_read_b32 v[vgprValuC+52], acc122 // copy acc to vreg[94]
v_accvgpr_read_b32 v[vgprValuC+53], acc123 // copy acc to vreg[95]
v_accvgpr_read_b32 v[vgprValuC+58], acc68 // copy acc to vreg[96]
v_accvgpr_read_b32 v[vgprValuC+59], acc69 // copy acc to vreg[97]
v_accvgpr_read_b32 v[vgprValuC+64], acc76 // copy acc to vreg[98]
v_accvgpr_read_b32 v[vgprValuC+65], acc77 // copy acc to vreg[99]
v_accvgpr_read_b32 v[vgprValuC+70], acc84 // copy acc to vreg[100]
v_accvgpr_read_b32 v[vgprValuC+71], acc85 // copy acc to vreg[101]
v_accvgpr_read_b32 v[vgprValuC+76], acc92 // copy acc to vreg[102]
v_accvgpr_read_b32 v[vgprValuC+77], acc93 // copy acc to vreg[103]
v_accvgpr_read_b32 v[vgprValuC+82], acc100 // copy acc to vreg[104]
v_accvgpr_read_b32 v[vgprValuC+83], acc101 // copy acc to vreg[105]
v_accvgpr_read_b32 v[vgprValuC+88], acc108 // copy acc to vreg[106]
v_accvgpr_read_b32 v[vgprValuC+89], acc109 // copy acc to vreg[107]
v_accvgpr_read_b32 v[vgprValuC+94], acc116 // copy acc to vreg[108]
v_accvgpr_read_b32 v[vgprValuC+95], acc117 // copy acc to vreg[109]
v_accvgpr_read_b32 v[vgprValuC+100], acc124 // copy acc to vreg[110]
v_accvgpr_read_b32 v[vgprValuC+101], acc125 // copy acc to vreg[111]
v_accvgpr_read_b32 v[vgprValuC+106], acc70 // copy acc to vreg[112]
v_accvgpr_read_b32 v[vgprValuC+107], acc71 // copy acc to vreg[113]
v_accvgpr_read_b32 v[vgprValuC+112], acc78 // copy acc to vreg[114]
v_accvgpr_read_b32 v[vgprValuC+113], acc79 // copy acc to vreg[115]
v_accvgpr_read_b32 v[vgprValuC+118], acc86 // copy acc to vreg[116]
v_accvgpr_read_b32 v[vgprValuC+119], acc87 // copy acc to vreg[117]
v_accvgpr_read_b32 v[vgprValuC+128], acc94 // copy acc to vreg[118]
v_accvgpr_read_b32 v[vgprValuC+129], acc95 // copy acc to vreg[119]
v_accvgpr_read_b32 v[vgprValuC+134], acc102 // copy acc to vreg[120]
v_accvgpr_read_b32 v[vgprValuC+135], acc103 // copy acc to vreg[121]
v_accvgpr_read_b32 v[vgprValuC+140], acc110 // copy acc to vreg[122]
v_accvgpr_read_b32 v[vgprValuC+141], acc111 // copy acc to vreg[123]
v_accvgpr_read_b32 v[vgprValuC+146], acc118 // copy acc to vreg[124]
v_accvgpr_read_b32 v[vgprValuC+147], acc119 // copy acc to vreg[125]
v_accvgpr_read_b32 v[vgprValuC+152], acc126 // copy acc to vreg[126]
v_accvgpr_read_b32 v[vgprValuC+153], acc127 // copy acc to vreg[127]
s_nop 1                                            // 2 wait states required before reading vgpr

/* rC *= alpha batchElements=[(5, 0, 0, 0), (5, 1, 0, 0), (5, 2, 0, 0), (5, 3, 0, 0), (5, 4, 0, 0), (5, 5, 0, 0), (5, 6, 0, 0), (5, 7, 0, 0), (6, 0, 0, 0), (6, 1, 0, 0), (6, 2, 0, 0), (6, 3, 0, 0), (6, 4, 0, 0), (6, 5, 0, 0), (6, 6, 0, 0), (6, 7, 0, 0), (7, 0, 0, 0), (7, 1, 0, 0), (7, 2, 0, 0), (7, 3, 0, 0), (7, 4, 0, 0), (7, 5, 0, 0), (7, 6, 0, 0), (7, 7, 0, 0)] */
v_mul_f64 v[vgprValuC+10:vgprValuC+10+1], s[sgprAlpha:sgprAlpha+1], v[vgprValuC+10:vgprValuC+10+1] // *= alpha
v_mul_f64 v[vgprValuC+16:vgprValuC+16+1], s[sgprAlpha:sgprAlpha+1], v[vgprValuC+16:vgprValuC+16+1] // *= alpha
	;; [unrolled: 1-line block ×24, first 2 shown]
s_waitcnt vmcnt(0)                                 // wait C

/* apply mask, calc new C and issue writes */
v_fma_f64 v[vgprValuC+10:vgprValuC+10+1], v[8:9], s[sgprBeta:sgprBeta+1], v[vgprValuC+10:vgprValuC+10+1] // finalSum = sum*alpha + C*beta
v_fma_f64 v[vgprValuC+16:vgprValuC+16+1], v[14:15], s[sgprBeta:sgprBeta+1], v[vgprValuC+16:vgprValuC+16+1] // finalSum = sum*alpha + C*beta
	;; [unrolled: 1-line block ×24, first 2 shown]
_buffer_store_b64 v[10:11], v6, s[sgprSrdD:sgprSrdD+3], 0, offen, offset:0,  sc0 sc1 // store D
_buffer_store_b64 v[16:17], v12, s[sgprSrdD:sgprSrdD+3], 0, offen, offset:0,  sc0 sc1 // store D
	;; [unrolled: 1-line block ×24, first 2 shown]
s_nop 0                                            // 1 wait state required when next inst writes vgprs held by previous dwordx4 store inst
s_branch label_GW_End_78                           // jump to end
label_GW_End_78:

label_0083:  /// KernelEnd
s_endpgm                                           // Kernel End

